;; amdgpu-corpus repo=ROCm/rocFFT kind=compiled arch=gfx1201 opt=O3
	.text
	.amdgcn_target "amdgcn-amd-amdhsa--gfx1201"
	.amdhsa_code_object_version 6
	.protected	fft_rtc_back_len121_factors_11_11_wgs_121_tpt_11_dp_ip_CI_sbcc_twdbase5_3step_dirReg ; -- Begin function fft_rtc_back_len121_factors_11_11_wgs_121_tpt_11_dp_ip_CI_sbcc_twdbase5_3step_dirReg
	.globl	fft_rtc_back_len121_factors_11_11_wgs_121_tpt_11_dp_ip_CI_sbcc_twdbase5_3step_dirReg
	.p2align	8
	.type	fft_rtc_back_len121_factors_11_11_wgs_121_tpt_11_dp_ip_CI_sbcc_twdbase5_3step_dirReg,@function
fft_rtc_back_len121_factors_11_11_wgs_121_tpt_11_dp_ip_CI_sbcc_twdbase5_3step_dirReg: ; @fft_rtc_back_len121_factors_11_11_wgs_121_tpt_11_dp_ip_CI_sbcc_twdbase5_3step_dirReg
; %bb.0:
	s_load_b256 s[4:11], s[0:1], 0x8
	s_mov_b32 s16, ttmp9
	s_mov_b32 s2, exec_lo
	v_cmpx_gt_u32_e32 0x60, v0
	s_cbranch_execz .LBB0_2
; %bb.1:
	v_lshlrev_b32_e32 v5, 4, v0
	s_wait_kmcnt 0x0
	global_load_b128 v[1:4], v5, s[4:5]
	v_add3_u32 v5, 0, v5, 0x5330
	s_wait_loadcnt 0x0
	ds_store_2addr_b64 v5, v[1:2], v[3:4] offset1:1
.LBB0_2:
	s_or_b32 exec_lo, exec_lo, s2
	s_mov_b32 s17, 0
	s_mov_b32 s2, 0x5d161400
	s_movk_i32 s3, 0x54
	s_wait_kmcnt 0x0
	s_mov_b32 s4, s17
	s_mov_b32 s5, s17
	s_mov_b32 s19, s17
	s_add_nc_u64 s[4:5], s[4:5], s[2:3]
	s_load_b64 s[2:3], s[8:9], 0x8
	s_add_co_i32 s5, s5, 0x1745d120
	s_mov_b64 s[24:25], 0
	s_mul_u64 s[12:13], s[4:5], -11
	s_delay_alu instid0(SALU_CYCLE_1)
	s_mul_hi_u32 s15, s4, s13
	s_mul_i32 s14, s4, s13
	s_mul_hi_u32 s18, s4, s12
	s_mul_hi_u32 s20, s5, s12
	s_mul_i32 s12, s5, s12
	s_add_nc_u64 s[14:15], s[18:19], s[14:15]
	s_mul_hi_u32 s18, s5, s13
	s_add_co_u32 s12, s14, s12
	s_add_co_ci_u32 s12, s15, s20
	s_add_co_ci_u32 s15, s18, 0
	s_mul_i32 s14, s5, s13
	s_mov_b32 s13, s17
	s_delay_alu instid0(SALU_CYCLE_1) | instskip(NEXT) | instid1(SALU_CYCLE_1)
	s_add_nc_u64 s[12:13], s[12:13], s[14:15]
	v_add_co_u32 v1, s4, s4, s12
	s_delay_alu instid0(VALU_DEP_1)
	s_cmp_lg_u32 s4, 0
	s_wait_kmcnt 0x0
	s_add_nc_u64 s[14:15], s[2:3], -1
	s_add_co_ci_u32 s19, s5, s13
	v_readfirstlane_b32 s18, v1
	s_mul_hi_u32 s5, s14, s19
	s_mul_i32 s4, s14, s19
	s_mov_b32 s13, s17
	s_delay_alu instid0(VALU_DEP_1)
	s_mul_hi_u32 s12, s14, s18
	s_wait_alu 0xfffe
	s_add_nc_u64 s[4:5], s[12:13], s[4:5]
	s_mul_i32 s13, s15, s18
	s_mul_hi_u32 s18, s15, s18
	s_mul_hi_u32 s12, s15, s19
	s_wait_alu 0xfffe
	s_add_co_u32 s4, s4, s13
	s_add_co_ci_u32 s4, s5, s18
	s_add_co_ci_u32 s13, s12, 0
	s_mul_i32 s12, s15, s19
	s_mov_b32 s5, s17
	s_wait_alu 0xfffe
	s_add_nc_u64 s[4:5], s[4:5], s[12:13]
	s_wait_alu 0xfffe
	s_mul_u64 s[12:13], s[4:5], 11
	s_wait_alu 0xfffe
	v_sub_co_u32 v1, s12, s14, s12
	s_delay_alu instid0(VALU_DEP_1) | instskip(SKIP_1) | instid1(VALU_DEP_1)
	s_cmp_lg_u32 s12, 0
	s_sub_co_ci_u32 s18, s15, s13
	v_sub_co_u32 v2, s14, v1, 11
	s_delay_alu instid0(VALU_DEP_1) | instskip(SKIP_2) | instid1(VALU_DEP_2)
	s_cmp_lg_u32 s14, 0
	v_readfirstlane_b32 s20, v1
	s_sub_co_ci_u32 s14, s18, 0
	v_readfirstlane_b32 s12, v2
	s_delay_alu instid0(VALU_DEP_1)
	s_cmp_gt_u32 s12, 10
	s_add_nc_u64 s[12:13], s[4:5], 1
	s_cselect_b32 s19, -1, 0
	s_wait_alu 0xfffe
	s_cmp_eq_u32 s14, 0
	s_add_nc_u64 s[14:15], s[4:5], 2
	s_cselect_b32 s19, s19, -1
	s_delay_alu instid0(SALU_CYCLE_1)
	s_cmp_lg_u32 s19, 0
	s_wait_alu 0xfffe
	s_cselect_b32 s12, s14, s12
	s_cselect_b32 s13, s15, s13
	s_cmp_gt_u32 s20, 10
	s_cselect_b32 s14, -1, 0
	s_cmp_eq_u32 s18, 0
	s_wait_alu 0xfffe
	s_cselect_b32 s14, s14, -1
	s_wait_alu 0xfffe
	s_cmp_lg_u32 s14, 0
	s_cselect_b32 s5, s13, s5
	s_cselect_b32 s4, s12, s4
	s_wait_alu 0xfffe
	s_add_nc_u64 s[18:19], s[4:5], 1
	s_delay_alu instid0(SALU_CYCLE_1) | instskip(NEXT) | instid1(VALU_DEP_1)
	v_cmp_lt_u64_e64 s4, s[16:17], s[18:19]
	s_and_b32 vcc_lo, exec_lo, s4
	s_cbranch_vccnz .LBB0_4
; %bb.3:
	v_cvt_f32_u32_e32 v1, s18
	s_sub_co_i32 s5, 0, s18
	s_mov_b32 s25, s17
	s_delay_alu instid0(VALU_DEP_1) | instskip(NEXT) | instid1(TRANS32_DEP_1)
	v_rcp_iflag_f32_e32 v1, v1
	v_mul_f32_e32 v1, 0x4f7ffffe, v1
	s_delay_alu instid0(VALU_DEP_1) | instskip(NEXT) | instid1(VALU_DEP_1)
	v_cvt_u32_f32_e32 v1, v1
	v_readfirstlane_b32 s4, v1
	s_wait_alu 0xfffe
	s_delay_alu instid0(VALU_DEP_1)
	s_mul_i32 s5, s5, s4
	s_wait_alu 0xfffe
	s_mul_hi_u32 s5, s4, s5
	s_wait_alu 0xfffe
	s_add_co_i32 s4, s4, s5
	s_wait_alu 0xfffe
	s_mul_hi_u32 s4, s16, s4
	s_wait_alu 0xfffe
	s_mul_i32 s5, s4, s18
	s_add_co_i32 s12, s4, 1
	s_wait_alu 0xfffe
	s_sub_co_i32 s5, s16, s5
	s_wait_alu 0xfffe
	s_sub_co_i32 s13, s5, s18
	s_cmp_ge_u32 s5, s18
	s_cselect_b32 s4, s12, s4
	s_wait_alu 0xfffe
	s_cselect_b32 s5, s13, s5
	s_add_co_i32 s12, s4, 1
	s_wait_alu 0xfffe
	s_cmp_ge_u32 s5, s18
	s_cselect_b32 s24, s12, s4
.LBB0_4:
	s_load_b128 s[12:15], s[10:11], 0x0
	s_load_b64 s[4:5], s[0:1], 0x0
	v_cmp_lt_u64_e64 s26, s[6:7], 3
	s_mul_u64 s[20:21], s[24:25], s[18:19]
	s_delay_alu instid0(SALU_CYCLE_1) | instskip(NEXT) | instid1(SALU_CYCLE_1)
	s_sub_nc_u64 s[20:21], s[16:17], s[20:21]
	s_mul_u64 s[22:23], s[20:21], 11
	s_delay_alu instid0(VALU_DEP_1)
	s_and_b32 vcc_lo, exec_lo, s26
	s_wait_kmcnt 0x0
	s_mul_u64 s[20:21], s[14:15], s[22:23]
	s_cbranch_vccnz .LBB0_14
; %bb.5:
	s_add_nc_u64 s[26:27], s[10:11], 16
	s_add_nc_u64 s[8:9], s[8:9], 16
	s_mov_b64 s[28:29], 2
	s_mov_b32 s30, 0
.LBB0_6:                                ; =>This Inner Loop Header: Depth=1
	s_load_b64 s[34:35], s[8:9], 0x0
                                        ; implicit-def: $sgpr38_sgpr39
	s_wait_kmcnt 0x0
	s_or_b64 s[36:37], s[24:25], s[34:35]
	s_delay_alu instid0(SALU_CYCLE_1)
	s_mov_b32 s31, s37
	s_mov_b32 s37, -1
	s_wait_alu 0xfffe
	s_cmp_lg_u64 s[30:31], 0
	s_cbranch_scc0 .LBB0_8
; %bb.7:                                ;   in Loop: Header=BB0_6 Depth=1
	s_cvt_f32_u32 s31, s34
	s_cvt_f32_u32 s33, s35
	s_sub_nc_u64 s[40:41], 0, s[34:35]
	s_mov_b32 s37, 0
	s_mov_b32 s45, s30
	s_wait_alu 0xfffe
	s_fmamk_f32 s31, s33, 0x4f800000, s31
	s_wait_alu 0xfffe
	s_delay_alu instid0(SALU_CYCLE_2) | instskip(NEXT) | instid1(TRANS32_DEP_1)
	v_s_rcp_f32 s31, s31
	s_mul_f32 s31, s31, 0x5f7ffffc
	s_wait_alu 0xfffe
	s_delay_alu instid0(SALU_CYCLE_2) | instskip(NEXT) | instid1(SALU_CYCLE_3)
	s_mul_f32 s33, s31, 0x2f800000
	s_trunc_f32 s33, s33
	s_delay_alu instid0(SALU_CYCLE_3) | instskip(SKIP_2) | instid1(SALU_CYCLE_1)
	s_fmamk_f32 s31, s33, 0xcf800000, s31
	s_cvt_u32_f32 s39, s33
	s_wait_alu 0xfffe
	s_cvt_u32_f32 s38, s31
	s_wait_alu 0xfffe
	s_delay_alu instid0(SALU_CYCLE_2)
	s_mul_u64 s[42:43], s[40:41], s[38:39]
	s_wait_alu 0xfffe
	s_mul_hi_u32 s47, s38, s43
	s_mul_i32 s46, s38, s43
	s_mul_hi_u32 s36, s38, s42
	s_mul_i32 s33, s39, s42
	s_add_nc_u64 s[46:47], s[36:37], s[46:47]
	s_mul_hi_u32 s31, s39, s42
	s_mul_hi_u32 s48, s39, s43
	s_add_co_u32 s33, s46, s33
	s_wait_alu 0xfffe
	s_add_co_ci_u32 s44, s47, s31
	s_mul_i32 s42, s39, s43
	s_add_co_ci_u32 s43, s48, 0
	s_wait_alu 0xfffe
	s_add_nc_u64 s[42:43], s[44:45], s[42:43]
	s_wait_alu 0xfffe
	v_add_co_u32 v1, s31, s38, s42
	s_delay_alu instid0(VALU_DEP_1) | instskip(SKIP_1) | instid1(VALU_DEP_1)
	s_cmp_lg_u32 s31, 0
	s_add_co_ci_u32 s39, s39, s43
	v_readfirstlane_b32 s38, v1
	s_mov_b32 s43, s30
	s_wait_alu 0xfffe
	s_delay_alu instid0(VALU_DEP_1)
	s_mul_u64 s[40:41], s[40:41], s[38:39]
	s_wait_alu 0xfffe
	s_mul_hi_u32 s45, s38, s41
	s_mul_i32 s44, s38, s41
	s_mul_hi_u32 s36, s38, s40
	s_mul_i32 s33, s39, s40
	s_add_nc_u64 s[44:45], s[36:37], s[44:45]
	s_mul_hi_u32 s31, s39, s40
	s_mul_hi_u32 s38, s39, s41
	s_add_co_u32 s33, s44, s33
	s_wait_alu 0xfffe
	s_add_co_ci_u32 s42, s45, s31
	s_mul_i32 s40, s39, s41
	s_add_co_ci_u32 s41, s38, 0
	s_wait_alu 0xfffe
	s_add_nc_u64 s[40:41], s[42:43], s[40:41]
	s_wait_alu 0xfffe
	v_add_co_u32 v1, s31, v1, s40
	s_delay_alu instid0(VALU_DEP_1) | instskip(SKIP_1) | instid1(VALU_DEP_1)
	s_cmp_lg_u32 s31, 0
	s_add_co_ci_u32 s31, s39, s41
	v_readfirstlane_b32 s33, v1
	s_wait_alu 0xfffe
	s_mul_hi_u32 s39, s24, s31
	s_mul_i32 s38, s24, s31
	s_mul_hi_u32 s41, s25, s31
	s_mul_i32 s40, s25, s31
	;; [unrolled: 2-line block ×3, first 2 shown]
	s_wait_alu 0xfffe
	s_add_nc_u64 s[38:39], s[36:37], s[38:39]
	s_mul_hi_u32 s33, s25, s33
	s_wait_alu 0xfffe
	s_add_co_u32 s31, s38, s31
	s_add_co_ci_u32 s42, s39, s33
	s_add_co_ci_u32 s41, s41, 0
	s_wait_alu 0xfffe
	s_add_nc_u64 s[38:39], s[42:43], s[40:41]
	s_wait_alu 0xfffe
	s_mul_u64 s[40:41], s[34:35], s[38:39]
	s_add_nc_u64 s[42:43], s[38:39], 1
	s_wait_alu 0xfffe
	v_sub_co_u32 v1, s31, s24, s40
	s_sub_co_i32 s33, s25, s41
	s_cmp_lg_u32 s31, 0
	s_add_nc_u64 s[44:45], s[38:39], 2
	s_delay_alu instid0(VALU_DEP_1) | instskip(SKIP_2) | instid1(VALU_DEP_1)
	v_sub_co_u32 v2, s36, v1, s34
	s_sub_co_ci_u32 s33, s33, s35
	s_cmp_lg_u32 s36, 0
	v_readfirstlane_b32 s36, v2
	s_sub_co_ci_u32 s33, s33, 0
	s_delay_alu instid0(SALU_CYCLE_1) | instskip(SKIP_1) | instid1(VALU_DEP_1)
	s_cmp_ge_u32 s33, s35
	s_cselect_b32 s40, -1, 0
	s_cmp_ge_u32 s36, s34
	s_cselect_b32 s36, -1, 0
	s_cmp_eq_u32 s33, s35
	s_wait_alu 0xfffe
	s_cselect_b32 s33, s36, s40
	s_delay_alu instid0(SALU_CYCLE_1)
	s_cmp_lg_u32 s33, 0
	s_cselect_b32 s33, s44, s42
	s_cselect_b32 s36, s45, s43
	s_cmp_lg_u32 s31, 0
	v_readfirstlane_b32 s31, v1
	s_sub_co_ci_u32 s40, s25, s41
	s_wait_alu 0xfffe
	s_cmp_ge_u32 s40, s35
	s_cselect_b32 s41, -1, 0
	s_cmp_ge_u32 s31, s34
	s_cselect_b32 s31, -1, 0
	s_cmp_eq_u32 s40, s35
	s_wait_alu 0xfffe
	s_cselect_b32 s31, s31, s41
	s_wait_alu 0xfffe
	s_cmp_lg_u32 s31, 0
	s_cselect_b32 s39, s36, s39
	s_cselect_b32 s38, s33, s38
.LBB0_8:                                ;   in Loop: Header=BB0_6 Depth=1
	s_and_not1_b32 vcc_lo, exec_lo, s37
	s_cbranch_vccnz .LBB0_10
; %bb.9:                                ;   in Loop: Header=BB0_6 Depth=1
	v_cvt_f32_u32_e32 v1, s34
	s_sub_co_i32 s33, 0, s34
	s_mov_b32 s39, s30
	s_delay_alu instid0(VALU_DEP_1) | instskip(NEXT) | instid1(TRANS32_DEP_1)
	v_rcp_iflag_f32_e32 v1, v1
	v_mul_f32_e32 v1, 0x4f7ffffe, v1
	s_delay_alu instid0(VALU_DEP_1) | instskip(NEXT) | instid1(VALU_DEP_1)
	v_cvt_u32_f32_e32 v1, v1
	v_readfirstlane_b32 s31, v1
	s_delay_alu instid0(VALU_DEP_1) | instskip(NEXT) | instid1(SALU_CYCLE_1)
	s_mul_i32 s33, s33, s31
	s_mul_hi_u32 s33, s31, s33
	s_delay_alu instid0(SALU_CYCLE_1)
	s_add_co_i32 s31, s31, s33
	s_wait_alu 0xfffe
	s_mul_hi_u32 s31, s24, s31
	s_wait_alu 0xfffe
	s_mul_i32 s33, s31, s34
	s_add_co_i32 s36, s31, 1
	s_sub_co_i32 s33, s24, s33
	s_delay_alu instid0(SALU_CYCLE_1)
	s_sub_co_i32 s37, s33, s34
	s_cmp_ge_u32 s33, s34
	s_cselect_b32 s31, s36, s31
	s_cselect_b32 s33, s37, s33
	s_wait_alu 0xfffe
	s_add_co_i32 s36, s31, 1
	s_cmp_ge_u32 s33, s34
	s_cselect_b32 s38, s36, s31
.LBB0_10:                               ;   in Loop: Header=BB0_6 Depth=1
	s_load_b64 s[36:37], s[26:27], 0x0
	s_add_nc_u64 s[28:29], s[28:29], 1
	s_mul_u64 s[18:19], s[34:35], s[18:19]
	s_wait_alu 0xfffe
	v_cmp_ge_u64_e64 s31, s[28:29], s[6:7]
	s_mul_u64 s[34:35], s[38:39], s[34:35]
	s_add_nc_u64 s[26:27], s[26:27], 8
	s_wait_alu 0xfffe
	s_sub_nc_u64 s[24:25], s[24:25], s[34:35]
	s_add_nc_u64 s[8:9], s[8:9], 8
	s_and_b32 vcc_lo, exec_lo, s31
	s_wait_kmcnt 0x0
	s_wait_alu 0xfffe
	s_mul_u64 s[24:25], s[36:37], s[24:25]
	s_wait_alu 0xfffe
	s_add_nc_u64 s[20:21], s[24:25], s[20:21]
	s_cbranch_vccnz .LBB0_12
; %bb.11:                               ;   in Loop: Header=BB0_6 Depth=1
	s_mov_b64 s[24:25], s[38:39]
	s_branch .LBB0_6
.LBB0_12:
	v_cmp_lt_u64_e64 s8, s[16:17], s[18:19]
	s_mov_b64 s[24:25], 0
	s_delay_alu instid0(VALU_DEP_1)
	s_and_b32 vcc_lo, exec_lo, s8
	s_cbranch_vccnz .LBB0_14
; %bb.13:
	v_cvt_f32_u32_e32 v1, s18
	s_sub_co_i32 s9, 0, s18
	s_mov_b32 s25, 0
	s_delay_alu instid0(VALU_DEP_1) | instskip(NEXT) | instid1(TRANS32_DEP_1)
	v_rcp_iflag_f32_e32 v1, v1
	v_mul_f32_e32 v1, 0x4f7ffffe, v1
	s_delay_alu instid0(VALU_DEP_1) | instskip(NEXT) | instid1(VALU_DEP_1)
	v_cvt_u32_f32_e32 v1, v1
	v_readfirstlane_b32 s8, v1
	s_delay_alu instid0(VALU_DEP_1) | instskip(NEXT) | instid1(SALU_CYCLE_1)
	s_mul_i32 s9, s9, s8
	s_mul_hi_u32 s9, s8, s9
	s_delay_alu instid0(SALU_CYCLE_1) | instskip(NEXT) | instid1(SALU_CYCLE_1)
	s_add_co_i32 s8, s8, s9
	s_mul_hi_u32 s8, s16, s8
	s_delay_alu instid0(SALU_CYCLE_1) | instskip(NEXT) | instid1(SALU_CYCLE_1)
	s_mul_i32 s9, s8, s18
	s_sub_co_i32 s9, s16, s9
	s_add_co_i32 s16, s8, 1
	s_sub_co_i32 s17, s9, s18
	s_cmp_ge_u32 s9, s18
	s_wait_alu 0xfffe
	s_cselect_b32 s8, s16, s8
	s_cselect_b32 s9, s17, s9
	s_add_co_i32 s16, s8, 1
	s_cmp_ge_u32 s9, s18
	s_wait_alu 0xfffe
	s_cselect_b32 s24, s16, s8
.LBB0_14:
	v_mul_hi_u32 v49, 0x1745d175, v0
	s_lshl_b64 s[6:7], s[6:7], 3
	s_load_b64 s[0:1], s[0:1], 0x58
	s_add_nc_u64 s[6:7], s[10:11], s[6:7]
                                        ; implicit-def: $vgpr7_vgpr8
                                        ; implicit-def: $vgpr11_vgpr12
                                        ; implicit-def: $vgpr15_vgpr16
                                        ; implicit-def: $vgpr19_vgpr20
                                        ; implicit-def: $vgpr23_vgpr24
                                        ; implicit-def: $vgpr27_vgpr28
                                        ; implicit-def: $vgpr31_vgpr32
                                        ; implicit-def: $vgpr35_vgpr36
                                        ; implicit-def: $vgpr39_vgpr40
                                        ; implicit-def: $vgpr43_vgpr44
                                        ; implicit-def: $vgpr3_vgpr4
	s_load_b64 s[6:7], s[6:7], 0x0
	s_delay_alu instid0(VALU_DEP_1) | instskip(NEXT) | instid1(VALU_DEP_1)
	v_mul_u32_u24_e32 v1, 11, v49
	v_sub_nc_u32_e32 v48, v0, v1
	s_delay_alu instid0(VALU_DEP_1) | instskip(NEXT) | instid1(VALU_DEP_1)
	v_add_co_u32 v45, s8, s22, v48
	v_add_co_ci_u32_e64 v46, null, s23, 0, s8
	s_add_nc_u64 s[8:9], s[22:23], 11
	s_wait_alu 0xfffe
	v_cmp_le_u64_e64 s8, s[8:9], s[2:3]
	s_delay_alu instid0(VALU_DEP_2)
	v_cmp_gt_u64_e32 vcc_lo, s[2:3], v[45:46]
	s_wait_kmcnt 0x0
	s_mul_u64 s[2:3], s[6:7], s[24:25]
	s_wait_alu 0xfffe
	s_add_nc_u64 s[2:3], s[2:3], s[20:21]
	s_or_b32 s33, s8, vcc_lo
	s_delay_alu instid0(SALU_CYCLE_1)
	s_and_saveexec_b32 s6, s33
	s_cbranch_execz .LBB0_16
; %bb.15:
	v_mad_co_u64_u32 v[1:2], null, s14, v48, 0
	v_mad_co_u64_u32 v[3:4], null, s12, v49, 0
	v_add_nc_u32_e32 v11, 11, v49
	v_add_nc_u32_e32 v12, 22, v49
	s_wait_alu 0xfffe
	s_lshl_b64 s[8:9], s[2:3], 4
	v_add_nc_u32_e32 v18, 55, v49
	s_wait_alu 0xfffe
	s_add_nc_u64 s[8:9], s[0:1], s[8:9]
	v_mad_co_u64_u32 v[5:6], null, s12, v11, 0
	v_mad_co_u64_u32 v[7:8], null, s15, v48, v[2:3]
	v_add_nc_u32_e32 v15, 33, v49
	v_add_nc_u32_e32 v24, 0x63, v49
	;; [unrolled: 1-line block ×4, first 2 shown]
	v_mad_co_u64_u32 v[8:9], null, s13, v49, v[4:5]
	v_mov_b32_e32 v2, v7
	v_mov_b32_e32 v4, v6
	v_mad_co_u64_u32 v[9:10], null, s12, v12, 0
	v_add_nc_u32_e32 v19, 0x4d, v49
	s_delay_alu instid0(VALU_DEP_4) | instskip(NEXT) | instid1(VALU_DEP_4)
	v_lshlrev_b64_e32 v[1:2], 4, v[1:2]
	v_mad_co_u64_u32 v[6:7], null, s13, v11, v[4:5]
	v_mov_b32_e32 v4, v8
	v_mad_co_u64_u32 v[7:8], null, s12, v15, 0
	s_wait_alu 0xfffe
	s_delay_alu instid0(VALU_DEP_4) | instskip(NEXT) | instid1(VALU_DEP_3)
	v_add_co_u32 v22, vcc_lo, s8, v1
	v_lshlrev_b64_e32 v[3:4], 4, v[3:4]
	v_add_co_ci_u32_e32 v23, vcc_lo, s9, v2, vcc_lo
	v_add_nc_u32_e32 v21, 0x58, v49
	s_delay_alu instid0(VALU_DEP_3) | instskip(SKIP_1) | instid1(VALU_DEP_3)
	v_add_co_u32 v1, vcc_lo, v22, v3
	s_wait_alu 0xfffd
	v_add_co_ci_u32_e32 v2, vcc_lo, v23, v4, vcc_lo
	v_lshlrev_b64_e32 v[3:4], 4, v[5:6]
	v_mad_co_u64_u32 v[5:6], null, s13, v12, v[10:11]
	v_mov_b32_e32 v6, v8
	v_mad_co_u64_u32 v[11:12], null, s12, v17, 0
	s_delay_alu instid0(VALU_DEP_4)
	v_add_co_u32 v13, vcc_lo, v22, v3
	s_wait_alu 0xfffd
	v_add_co_ci_u32_e32 v14, vcc_lo, v23, v4, vcc_lo
	v_mov_b32_e32 v10, v5
	v_mad_co_u64_u32 v[5:6], null, s13, v15, v[6:7]
	v_mad_co_u64_u32 v[15:16], null, s12, v18, 0
	v_mov_b32_e32 v6, v12
	s_clause 0x1
	global_load_b128 v[1:4], v[1:2], off
	global_load_b128 v[41:44], v[13:14], off
	v_lshlrev_b64_e32 v[9:10], 4, v[9:10]
	v_mov_b32_e32 v8, v5
	v_mad_co_u64_u32 v[12:13], null, s13, v17, v[6:7]
	v_mov_b32_e32 v5, v16
	s_delay_alu instid0(VALU_DEP_4) | instskip(NEXT) | instid1(VALU_DEP_4)
	v_add_co_u32 v9, vcc_lo, v22, v9
	v_lshlrev_b64_e32 v[6:7], 4, v[7:8]
	s_wait_alu 0xfffd
	v_add_co_ci_u32_e32 v10, vcc_lo, v23, v10, vcc_lo
	s_delay_alu instid0(VALU_DEP_2)
	v_mad_co_u64_u32 v[13:14], null, s13, v18, v[5:6]
	v_add_nc_u32_e32 v14, 0x42, v49
	v_add_co_u32 v5, vcc_lo, v22, v6
	s_wait_alu 0xfffd
	v_add_co_ci_u32_e32 v6, vcc_lo, v23, v7, vcc_lo
	v_lshlrev_b64_e32 v[7:8], 4, v[11:12]
	v_mad_co_u64_u32 v[11:12], null, s12, v14, 0
	v_mov_b32_e32 v16, v13
	s_clause 0x1
	global_load_b128 v[37:40], v[9:10], off
	global_load_b128 v[33:36], v[5:6], off
	v_mad_co_u64_u32 v[17:18], null, s12, v24, 0
	v_add_co_u32 v5, vcc_lo, v22, v7
	s_wait_alu 0xfffd
	v_add_co_ci_u32_e32 v6, vcc_lo, v23, v8, vcc_lo
	v_lshlrev_b64_e32 v[8:9], 4, v[15:16]
	v_mov_b32_e32 v7, v12
	v_mad_co_u64_u32 v[15:16], null, s12, v21, 0
	s_delay_alu instid0(VALU_DEP_2)
	v_mad_co_u64_u32 v[12:13], null, s13, v14, v[7:8]
	v_mad_co_u64_u32 v[13:14], null, s12, v19, 0
	v_add_co_u32 v7, vcc_lo, v22, v8
	s_wait_alu 0xfffd
	v_add_co_ci_u32_e32 v8, vcc_lo, v23, v9, vcc_lo
	v_mov_b32_e32 v10, v16
	s_clause 0x1
	global_load_b128 v[29:32], v[5:6], off
	global_load_b128 v[25:28], v[7:8], off
	v_mov_b32_e32 v9, v14
	v_lshlrev_b64_e32 v[6:7], 4, v[11:12]
	v_mov_b32_e32 v5, v18
	s_delay_alu instid0(VALU_DEP_3) | instskip(SKIP_2) | instid1(VALU_DEP_3)
	v_mad_co_u64_u32 v[19:20], null, s13, v19, v[9:10]
	v_mad_co_u64_u32 v[9:10], null, s13, v21, v[10:11]
	v_mad_co_u64_u32 v[20:21], null, s12, v46, 0
	v_mov_b32_e32 v14, v19
	s_delay_alu instid0(VALU_DEP_3) | instskip(SKIP_1) | instid1(VALU_DEP_4)
	v_mov_b32_e32 v16, v9
	v_mad_co_u64_u32 v[8:9], null, s13, v24, v[5:6]
	v_mov_b32_e32 v5, v21
	v_add_co_u32 v6, vcc_lo, v22, v6
	v_lshlrev_b64_e32 v[9:10], 4, v[13:14]
	s_wait_alu 0xfffd
	v_add_co_ci_u32_e32 v7, vcc_lo, v23, v7, vcc_lo
	s_delay_alu instid0(VALU_DEP_3)
	v_mad_co_u64_u32 v[11:12], null, s13, v46, v[5:6]
	v_lshlrev_b64_e32 v[12:13], 4, v[15:16]
	v_mov_b32_e32 v18, v8
	v_add_co_u32 v8, vcc_lo, v22, v9
	s_wait_alu 0xfffd
	v_add_co_ci_u32_e32 v9, vcc_lo, v23, v10, vcc_lo
	v_mov_b32_e32 v21, v11
	v_lshlrev_b64_e32 v[14:15], 4, v[17:18]
	v_add_co_u32 v10, vcc_lo, v22, v12
	s_wait_alu 0xfffd
	v_add_co_ci_u32_e32 v11, vcc_lo, v23, v13, vcc_lo
	v_lshlrev_b64_e32 v[12:13], 4, v[20:21]
	s_delay_alu instid0(VALU_DEP_4) | instskip(SKIP_2) | instid1(VALU_DEP_3)
	v_add_co_u32 v46, vcc_lo, v22, v14
	s_wait_alu 0xfffd
	v_add_co_ci_u32_e32 v47, vcc_lo, v23, v15, vcc_lo
	v_add_co_u32 v50, vcc_lo, v22, v12
	s_wait_alu 0xfffd
	v_add_co_ci_u32_e32 v51, vcc_lo, v23, v13, vcc_lo
	s_clause 0x4
	global_load_b128 v[21:24], v[6:7], off
	global_load_b128 v[17:20], v[8:9], off
	;; [unrolled: 1-line block ×5, first 2 shown]
.LBB0_16:
	s_wait_alu 0xfffe
	s_or_b32 exec_lo, exec_lo, s6
	s_wait_loadcnt 0x9
	v_add_f64_e32 v[50:51], v[41:42], v[1:2]
	v_add_f64_e32 v[52:53], v[43:44], v[3:4]
	s_wait_loadcnt 0x0
	v_add_f64_e64 v[54:55], v[43:44], -v[7:8]
	v_add_f64_e64 v[56:57], v[41:42], -v[5:6]
	v_add_f64_e32 v[58:59], v[13:14], v[33:34]
	v_add_f64_e32 v[60:61], v[15:16], v[35:36]
	v_add_f64_e64 v[64:65], v[33:34], -v[13:14]
	v_add_f64_e64 v[66:67], v[35:36], -v[15:16]
	s_mov_b32 s20, 0xf8bb580b
	s_mov_b32 s26, 0x8eee2c13
	;; [unrolled: 1-line block ×7, first 2 shown]
	v_add_f64_e32 v[46:47], v[5:6], v[41:42]
	v_add_f64_e32 v[41:42], v[7:8], v[43:44]
	s_mov_b32 s23, 0xbfe82f19
	s_mov_b32 s24, 0xfd768dbf
	v_add_f64_e64 v[43:44], v[39:40], -v[11:12]
	v_add_f64_e64 v[62:63], v[37:38], -v[9:10]
	;; [unrolled: 1-line block ×3, first 2 shown]
	s_mov_b32 s25, 0xbfd207e7
	v_add_f64_e32 v[68:69], v[17:18], v[29:30]
	v_add_f64_e32 v[70:71], v[19:20], v[31:32]
	v_add_f64_e64 v[72:73], v[29:30], -v[17:18]
	v_add_f64_e64 v[74:75], v[31:32], -v[19:20]
	s_mov_b32 s6, 0x8764f0ba
	s_mov_b32 s8, 0xd9c712b6
	;; [unrolled: 1-line block ×9, first 2 shown]
	s_wait_alu 0xfffe
	s_mov_b32 s38, s24
	s_mov_b32 s34, s18
	v_add_f64_e32 v[50:51], v[37:38], v[50:51]
	v_add_f64_e32 v[52:53], v[39:40], v[52:53]
	v_mul_f64_e32 v[84:85], s[20:21], v[54:55]
	v_mul_f64_e32 v[86:87], s[20:21], v[56:57]
	v_mul_f64_e32 v[88:89], s[26:27], v[54:55]
	v_mul_f64_e32 v[90:91], s[26:27], v[56:57]
	v_mul_f64_e32 v[92:93], s[18:19], v[54:55]
	v_mul_f64_e32 v[94:95], s[18:19], v[56:57]
	v_mul_f64_e32 v[96:97], s[22:23], v[54:55]
	v_mul_f64_e32 v[98:99], s[22:23], v[56:57]
	v_mul_f64_e32 v[54:55], s[24:25], v[54:55]
	v_mul_f64_e32 v[56:57], s[24:25], v[56:57]
	s_mov_b32 s30, s20
	s_mov_b32 s36, s26
	;; [unrolled: 1-line block ×6, first 2 shown]
	v_add_f64_e32 v[37:38], v[9:10], v[37:38]
	v_add_f64_e32 v[39:40], v[11:12], v[39:40]
	v_mul_f64_e32 v[100:101], s[26:27], v[43:44]
	v_mul_f64_e32 v[102:103], s[22:23], v[43:44]
	s_wait_alu 0xfffe
	v_mul_f64_e32 v[104:105], s[38:39], v[43:44]
	v_mul_f64_e32 v[106:107], s[22:23], v[62:63]
	;; [unrolled: 1-line block ×6, first 2 shown]
	s_mov_b32 s29, 0xbfeeb42a
	v_mul_f64_e32 v[108:109], s[38:39], v[62:63]
	v_mul_f64_e32 v[110:111], s[34:35], v[62:63]
	v_add_f64_e32 v[76:77], v[21:22], v[25:26]
	v_add_f64_e32 v[78:79], v[23:24], v[27:28]
	v_add_f64_e64 v[82:83], v[27:28], -v[23:24]
	v_mul_f64_e32 v[112:113], s[18:19], v[66:67]
	v_mul_f64_e32 v[114:115], s[38:39], v[66:67]
	;; [unrolled: 1-line block ×4, first 2 shown]
	v_add_f64_e32 v[33:34], v[33:34], v[50:51]
	v_add_f64_e32 v[35:36], v[35:36], v[52:53]
	v_mul_f64_e32 v[50:51], s[34:35], v[43:44]
	v_mul_f64_e32 v[43:44], s[30:31], v[43:44]
	;; [unrolled: 1-line block ×3, first 2 shown]
	v_fma_f64 v[160:161], v[46:47], s[8:9], v[88:89]
	v_fma_f64 v[162:163], v[41:42], s[8:9], -v[90:91]
	v_fma_f64 v[88:89], v[46:47], s[8:9], -v[88:89]
	v_fma_f64 v[164:165], v[46:47], s[10:11], v[92:93]
	v_fma_f64 v[166:167], v[41:42], s[10:11], -v[94:95]
	v_fma_f64 v[92:93], v[46:47], s[10:11], -v[92:93]
	v_fma_f64 v[168:169], v[46:47], s[16:17], v[96:97]
	v_fma_f64 v[170:171], v[41:42], s[16:17], -v[98:99]
	v_mul_f64_e32 v[62:63], s[30:31], v[62:63]
	v_fma_f64 v[96:97], v[46:47], s[16:17], -v[96:97]
	s_wait_alu 0xfffe
	v_fma_f64 v[172:173], v[46:47], s[28:29], v[54:55]
	v_fma_f64 v[90:91], v[41:42], s[8:9], v[90:91]
	;; [unrolled: 1-line block ×4, first 2 shown]
	v_mul_f64_e32 v[66:67], s[22:23], v[66:67]
	v_mul_f64_e32 v[120:121], s[18:19], v[64:65]
	;; [unrolled: 1-line block ×3, first 2 shown]
	v_fma_f64 v[174:175], v[37:38], s[16:17], v[102:103]
	v_fma_f64 v[102:103], v[37:38], s[16:17], -v[102:103]
	v_fma_f64 v[176:177], v[37:38], s[28:29], v[104:105]
	v_fma_f64 v[104:105], v[37:38], s[28:29], -v[104:105]
	v_fma_f64 v[182:183], v[39:40], s[16:17], -v[106:107]
	v_mul_f64_e32 v[124:125], s[36:37], v[64:65]
	v_mul_f64_e32 v[126:127], s[20:21], v[64:65]
	v_fma_f64 v[184:185], v[39:40], s[28:29], -v[108:109]
	v_mul_f64_e32 v[64:65], s[22:23], v[64:65]
	v_fma_f64 v[106:107], v[39:40], s[16:17], v[106:107]
	v_mul_f64_e32 v[128:129], s[22:23], v[74:75]
	v_mul_f64_e32 v[130:131], s[34:35], v[74:75]
	;; [unrolled: 1-line block ×6, first 2 shown]
	v_add_f64_e32 v[29:30], v[29:30], v[33:34]
	v_add_f64_e32 v[31:32], v[31:32], v[35:36]
	v_mul_f64_e32 v[33:34], s[24:25], v[80:81]
	v_fma_f64 v[35:36], v[46:47], s[6:7], v[84:85]
	v_fma_f64 v[80:81], v[41:42], s[6:7], -v[86:87]
	v_fma_f64 v[84:85], v[46:47], s[6:7], -v[84:85]
	v_fma_f64 v[86:87], v[41:42], s[6:7], v[86:87]
	v_fma_f64 v[46:47], v[46:47], s[28:29], -v[54:55]
	v_fma_f64 v[54:55], v[41:42], s[28:29], -v[56:57]
	v_fma_f64 v[41:42], v[41:42], s[28:29], v[56:57]
	v_fma_f64 v[56:57], v[37:38], s[8:9], v[100:101]
	v_fma_f64 v[100:101], v[37:38], s[8:9], -v[100:101]
	v_fma_f64 v[178:179], v[37:38], s[10:11], v[50:51]
	v_fma_f64 v[50:51], v[37:38], s[10:11], -v[50:51]
	;; [unrolled: 2-line block ×3, first 2 shown]
	v_fma_f64 v[43:44], v[39:40], s[8:9], -v[52:53]
	v_fma_f64 v[52:53], v[39:40], s[8:9], v[52:53]
	v_add_f64_e32 v[160:161], v[1:2], v[160:161]
	v_add_f64_e32 v[162:163], v[3:4], v[162:163]
	;; [unrolled: 1-line block ×12, first 2 shown]
	v_mul_f64_e32 v[138:139], s[34:35], v[72:73]
	v_fma_f64 v[186:187], v[58:59], s[28:29], v[114:115]
	v_fma_f64 v[114:115], v[58:59], s[28:29], -v[114:115]
	v_fma_f64 v[188:189], v[58:59], s[8:9], v[116:117]
	v_fma_f64 v[116:117], v[58:59], s[8:9], -v[116:117]
	v_fma_f64 v[190:191], v[58:59], s[6:7], v[118:119]
	v_fma_f64 v[118:119], v[58:59], s[6:7], -v[118:119]
	v_fma_f64 v[192:193], v[58:59], s[16:17], v[66:67]
	v_add_f64_e32 v[25:26], v[25:26], v[29:30]
	v_add_f64_e32 v[27:28], v[27:28], v[31:32]
	v_fma_f64 v[31:32], v[39:40], s[10:11], -v[110:111]
	v_add_f64_e32 v[35:36], v[1:2], v[35:36]
	v_fma_f64 v[29:30], v[39:40], s[28:29], v[108:109]
	v_add_f64_e32 v[84:85], v[1:2], v[84:85]
	v_add_f64_e32 v[86:87], v[3:4], v[86:87]
	v_fma_f64 v[108:109], v[39:40], s[10:11], v[110:111]
	v_fma_f64 v[110:111], v[39:40], s[6:7], -v[62:63]
	v_add_f64_e32 v[54:55], v[3:4], v[54:55]
	v_fma_f64 v[39:40], v[39:40], s[6:7], v[62:63]
	v_add_f64_e32 v[1:2], v[1:2], v[46:47]
	v_add_f64_e32 v[41:42], v[3:4], v[41:42]
	;; [unrolled: 1-line block ×4, first 2 shown]
	v_fma_f64 v[62:63], v[58:59], s[10:11], v[112:113]
	v_fma_f64 v[112:113], v[58:59], s[10:11], -v[112:113]
	v_fma_f64 v[58:59], v[58:59], s[16:17], -v[66:67]
	;; [unrolled: 1-line block ×3, first 2 shown]
	v_fma_f64 v[120:121], v[60:61], s[10:11], v[120:121]
	v_mul_f64_e32 v[140:141], s[20:21], v[72:73]
	v_fma_f64 v[80:81], v[60:61], s[8:9], -v[124:125]
	v_add_f64_e32 v[88:89], v[102:103], v[88:89]
	v_add_f64_e32 v[102:103], v[184:185], v[166:167]
	v_mul_f64_e32 v[142:143], s[24:25], v[72:73]
	v_add_f64_e32 v[92:93], v[104:105], v[92:93]
	v_add_f64_e32 v[104:105], v[178:179], v[168:169]
	v_mul_f64_e32 v[72:73], s[36:37], v[72:73]
	v_fma_f64 v[98:99], v[60:61], s[8:9], v[124:125]
	v_fma_f64 v[124:125], v[60:61], s[6:7], v[126:127]
	v_add_f64_e32 v[50:51], v[50:51], v[96:97]
	v_add_f64_e32 v[96:97], v[180:181], v[172:173]
	v_mul_f64_e32 v[146:147], s[30:31], v[82:83]
	v_fma_f64 v[194:195], v[68:69], s[10:11], v[130:131]
	v_fma_f64 v[130:131], v[68:69], s[10:11], -v[130:131]
	v_fma_f64 v[196:197], v[68:69], s[6:7], v[132:133]
	v_fma_f64 v[132:133], v[68:69], s[6:7], -v[132:133]
	v_fma_f64 v[198:199], v[68:69], s[28:29], v[134:135]
	v_add_f64_e32 v[21:22], v[21:22], v[25:26]
	v_add_f64_e32 v[23:24], v[23:24], v[27:28]
	v_fma_f64 v[25:26], v[60:61], s[28:29], -v[122:123]
	v_add_f64_e32 v[35:36], v[56:57], v[35:36]
	v_fma_f64 v[27:28], v[60:61], s[28:29], v[122:123]
	v_add_f64_e32 v[56:57], v[100:101], v[84:85]
	v_add_f64_e32 v[52:53], v[52:53], v[86:87]
	;; [unrolled: 1-line block ×5, first 2 shown]
	v_fma_f64 v[122:123], v[60:61], s[6:7], -v[126:127]
	v_add_f64_e32 v[31:32], v[31:32], v[170:171]
	v_fma_f64 v[126:127], v[60:61], s[16:17], -v[64:65]
	v_add_f64_e32 v[54:55], v[110:111], v[54:55]
	v_fma_f64 v[60:61], v[60:61], s[16:17], v[64:65]
	v_add_f64_e32 v[1:2], v[37:38], v[1:2]
	v_add_f64_e32 v[37:38], v[39:40], v[41:42]
	;; [unrolled: 1-line block ×6, first 2 shown]
	v_fma_f64 v[64:65], v[68:69], s[16:17], v[128:129]
	v_fma_f64 v[128:129], v[68:69], s[16:17], -v[128:129]
	v_fma_f64 v[134:135], v[68:69], s[28:29], -v[134:135]
	v_fma_f64 v[46:47], v[70:71], s[16:17], v[136:137]
	v_mul_f64_e32 v[144:145], s[24:25], v[82:83]
	v_mul_f64_e32 v[148:149], s[22:23], v[82:83]
	;; [unrolled: 1-line block ×4, first 2 shown]
	v_fma_f64 v[90:91], v[70:71], s[6:7], -v[140:141]
	v_add_f64_e32 v[80:81], v[80:81], v[102:103]
	v_fma_f64 v[106:107], v[70:71], s[28:29], -v[142:143]
	v_fma_f64 v[110:111], v[70:71], s[8:9], -v[72:73]
	v_add_f64_e32 v[96:97], v[192:193], v[96:97]
	v_fma_f64 v[43:44], v[70:71], s[16:17], -v[136:137]
	v_fma_f64 v[94:95], v[70:71], s[6:7], v[140:141]
	v_fma_f64 v[108:109], v[70:71], s[28:29], v[142:143]
	v_add_f64_e32 v[50:51], v[118:119], v[50:51]
	v_add_f64_e32 v[17:18], v[17:18], v[21:22]
	;; [unrolled: 1-line block ×3, first 2 shown]
	v_fma_f64 v[21:22], v[68:69], s[8:9], v[74:75]
	v_fma_f64 v[23:24], v[68:69], s[8:9], -v[74:75]
	v_fma_f64 v[68:69], v[70:71], s[10:11], -v[138:139]
	v_add_f64_e32 v[35:36], v[62:63], v[35:36]
	v_add_f64_e32 v[52:53], v[120:121], v[52:53]
	;; [unrolled: 1-line block ×11, first 2 shown]
	v_fma_f64 v[74:75], v[70:71], s[10:11], v[138:139]
	v_fma_f64 v[70:71], v[70:71], s[8:9], v[72:73]
	v_add_f64_e32 v[1:2], v[58:59], v[1:2]
	v_add_f64_e32 v[37:38], v[60:61], v[37:38]
	;; [unrolled: 1-line block ×6, first 2 shown]
	v_fma_f64 v[138:139], v[76:77], s[6:7], v[146:147]
	v_fma_f64 v[72:73], v[76:77], s[28:29], v[144:145]
	v_fma_f64 v[136:137], v[76:77], s[28:29], -v[144:145]
	v_fma_f64 v[140:141], v[76:77], s[6:7], -v[146:147]
	;; [unrolled: 1-line block ×3, first 2 shown]
	v_fma_f64 v[58:59], v[76:77], s[8:9], v[150:151]
	v_fma_f64 v[60:61], v[76:77], s[8:9], -v[150:151]
	v_fma_f64 v[66:67], v[76:77], s[10:11], v[82:83]
	v_fma_f64 v[98:99], v[78:79], s[16:17], -v[154:155]
	;; [unrolled: 2-line block ×4, first 2 shown]
	v_fma_f64 v[114:115], v[78:79], s[10:11], v[158:159]
	v_add_f64_e32 v[13:14], v[13:14], v[17:18]
	v_add_f64_e32 v[15:16], v[15:16], v[19:20]
	v_fma_f64 v[17:18], v[78:79], s[6:7], -v[152:153]
	v_fma_f64 v[19:20], v[76:77], s[16:17], v[148:149]
	v_fma_f64 v[76:77], v[76:77], s[10:11], -v[82:83]
	v_fma_f64 v[82:83], v[78:79], s[6:7], v[152:153]
	v_add_f64_e32 v[46:47], v[46:47], v[52:53]
	v_add_f64_e32 v[52:53], v[194:195], v[62:63]
	;; [unrolled: 1-line block ×3, first 2 shown]
	v_fma_f64 v[116:117], v[78:79], s[28:29], v[33:34]
	v_fma_f64 v[78:79], v[78:79], s[28:29], -v[33:34]
	v_add_f64_e32 v[33:34], v[64:65], v[35:36]
	v_add_f64_e32 v[62:63], v[196:197], v[86:87]
	;; [unrolled: 1-line block ×22, first 2 shown]
	v_mad_u32_u24 v26, 0x790, v49, 0
	v_add_f64_e32 v[1:2], v[72:73], v[33:34]
	v_add_f64_e32 v[21:22], v[19:20], v[62:63]
	;; [unrolled: 1-line block ×17, first 2 shown]
	v_lshl_add_u32 v25, v48, 4, v26
	v_add_f64_e32 v[5:6], v[5:6], v[90:91]
	v_add_f64_e32 v[7:8], v[7:8], v[92:93]
	ds_store_b128 v25, v[13:16] offset:352
	ds_store_b128 v25, v[21:24] offset:528
	;; [unrolled: 1-line block ×9, first 2 shown]
	ds_store_b128 v25, v[5:8]
	ds_store_b128 v25, v[1:4] offset:176
	global_wb scope:SCOPE_SE
	s_wait_dscnt 0x0
	s_barrier_signal -1
	s_barrier_wait -1
	global_inv scope:SCOPE_SE
	s_and_saveexec_b32 s40, s33
	s_cbranch_execz .LBB0_18
; %bb.17:
	v_mul_hi_u32 v1, 0x1745d175, v49
	s_add_co_i32 s33, 0, 0x5330
	v_mul_lo_u32 v27, v45, -11
	v_mul_hi_u32 v0, 0x21d9eae, v0
	s_lshl_b64 s[2:3], s[2:3], 4
	s_wait_alu 0xfffe
	s_add_nc_u64 s[0:1], s[0:1], s[2:3]
	s_delay_alu instid0(VALU_DEP_3) | instskip(NEXT) | instid1(VALU_DEP_1)
	v_mul_u32_u24_e32 v1, 11, v1
	v_sub_nc_u32_e32 v25, v49, v1
	s_delay_alu instid0(VALU_DEP_1) | instskip(NEXT) | instid1(VALU_DEP_1)
	v_mul_lo_u32 v1, v25, v45
	v_lshrrev_b32_e32 v2, 1, v1
	v_and_b32_e32 v3, 31, v1
	v_lshrrev_b32_e32 v1, 6, v1
	s_delay_alu instid0(VALU_DEP_3) | instskip(NEXT) | instid1(VALU_DEP_3)
	v_and_b32_e32 v2, 0x1f0, v2
	v_lshl_add_u32 v3, v3, 4, 0
	s_delay_alu instid0(VALU_DEP_3) | instskip(NEXT) | instid1(VALU_DEP_3)
	v_and_b32_e32 v1, 0x1f0, v1
	v_add_nc_u32_e32 v2, s33, v2
	ds_load_b128 v[5:8], v2 offset:512
	ds_load_b128 v[9:12], v3 offset:21296
	v_add_nc_u32_e32 v1, s33, v1
	ds_load_b128 v[1:4], v1 offset:1024
	s_wait_dscnt 0x1
	v_mul_f64_e32 v[13:14], v[11:12], v[7:8]
	v_mul_f64_e32 v[7:8], v[9:10], v[7:8]
	s_delay_alu instid0(VALU_DEP_2) | instskip(NEXT) | instid1(VALU_DEP_2)
	v_fma_f64 v[13:14], v[9:10], v[5:6], -v[13:14]
	v_fma_f64 v[15:16], v[11:12], v[5:6], v[7:8]
	v_add_nc_u32_e32 v5, 0x6e, v25
	s_delay_alu instid0(VALU_DEP_1) | instskip(NEXT) | instid1(VALU_DEP_1)
	v_mul_lo_u32 v5, v5, v45
	v_add_nc_u32_e32 v36, v5, v27
	v_lshrrev_b32_e32 v6, 1, v5
	v_lshrrev_b32_e32 v7, 6, v5
	v_and_b32_e32 v5, 31, v5
	s_delay_alu instid0(VALU_DEP_4) | instskip(NEXT) | instid1(VALU_DEP_4)
	v_lshrrev_b32_e32 v8, 6, v36
	v_and_b32_e32 v6, 0x1f0, v6
	s_delay_alu instid0(VALU_DEP_4) | instskip(NEXT) | instid1(VALU_DEP_4)
	v_and_b32_e32 v7, 0x1f0, v7
	v_lshl_add_u32 v5, v5, 4, 0
	s_delay_alu instid0(VALU_DEP_4) | instskip(NEXT) | instid1(VALU_DEP_4)
	v_and_b32_e32 v8, 0x1f0, v8
	v_add_nc_u32_e32 v6, s33, v6
	s_delay_alu instid0(VALU_DEP_4) | instskip(NEXT) | instid1(VALU_DEP_3)
	v_add_nc_u32_e32 v7, s33, v7
	v_add_nc_u32_e32 v8, s33, v8
	ds_load_b128 v[19:22], v6 offset:512
	ds_load_b128 v[28:31], v5 offset:21296
	;; [unrolled: 1-line block ×4, first 2 shown]
	s_wait_dscnt 0x2
	v_mul_f64_e32 v[17:18], v[30:31], v[21:22]
	v_mul_f64_e32 v[21:22], v[28:29], v[21:22]
	s_delay_alu instid0(VALU_DEP_2) | instskip(NEXT) | instid1(VALU_DEP_2)
	v_fma_f64 v[17:18], v[28:29], v[19:20], -v[17:18]
	v_fma_f64 v[19:20], v[30:31], v[19:20], v[21:22]
	v_lshrrev_b32_e32 v21, 1, v36
	v_and_b32_e32 v22, 31, v36
	s_delay_alu instid0(VALU_DEP_2) | instskip(NEXT) | instid1(VALU_DEP_2)
	v_and_b32_e32 v21, 0x1f0, v21
	v_lshl_add_u32 v22, v22, 4, 0
	s_delay_alu instid0(VALU_DEP_2)
	v_add_nc_u32_e32 v21, s33, v21
	ds_load_b128 v[28:31], v22 offset:21296
	ds_load_b128 v[32:35], v21 offset:512
	s_wait_dscnt 0x0
	v_mul_f64_e32 v[21:22], v[30:31], v[34:35]
	v_mul_f64_e32 v[23:24], v[28:29], v[34:35]
	s_delay_alu instid0(VALU_DEP_2) | instskip(SKIP_1) | instid1(VALU_DEP_3)
	v_fma_f64 v[21:22], v[28:29], v[32:33], -v[21:22]
	v_add_nc_u32_e32 v28, v36, v27
	v_fma_f64 v[23:24], v[30:31], v[32:33], v[23:24]
	s_delay_alu instid0(VALU_DEP_2) | instskip(SKIP_3) | instid1(VALU_DEP_4)
	v_add_nc_u32_e32 v46, v28, v27
	v_lshrrev_b32_e32 v29, 1, v28
	v_lshrrev_b32_e32 v30, 6, v28
	v_and_b32_e32 v28, 31, v28
	v_lshrrev_b32_e32 v31, 6, v46
	s_delay_alu instid0(VALU_DEP_4) | instskip(NEXT) | instid1(VALU_DEP_4)
	v_and_b32_e32 v29, 0x1f0, v29
	v_and_b32_e32 v30, 0x1f0, v30
	s_delay_alu instid0(VALU_DEP_4) | instskip(NEXT) | instid1(VALU_DEP_4)
	v_lshl_add_u32 v32, v28, 4, 0
	v_and_b32_e32 v31, 0x1f0, v31
	s_delay_alu instid0(VALU_DEP_4) | instskip(NEXT) | instid1(VALU_DEP_4)
	v_add_nc_u32_e32 v29, s33, v29
	v_add_nc_u32_e32 v36, s33, v30
	s_delay_alu instid0(VALU_DEP_3)
	v_add_nc_u32_e32 v40, s33, v31
	ds_load_b128 v[28:31], v29 offset:512
	ds_load_b128 v[32:35], v32 offset:21296
	ds_load_b128 v[36:39], v36 offset:1024
	ds_load_b128 v[40:43], v40 offset:1024
	s_wait_dscnt 0x2
	v_mul_f64_e32 v[44:45], v[34:35], v[30:31]
	v_mul_f64_e32 v[30:31], v[32:33], v[30:31]
	s_delay_alu instid0(VALU_DEP_2) | instskip(NEXT) | instid1(VALU_DEP_2)
	v_fma_f64 v[90:91], v[32:33], v[28:29], -v[44:45]
	v_fma_f64 v[92:93], v[34:35], v[28:29], v[30:31]
	v_lshrrev_b32_e32 v28, 1, v46
	v_and_b32_e32 v29, 31, v46
	s_delay_alu instid0(VALU_DEP_2) | instskip(NEXT) | instid1(VALU_DEP_2)
	v_and_b32_e32 v28, 0x1f0, v28
	v_lshl_add_u32 v29, v29, 4, 0
	s_delay_alu instid0(VALU_DEP_2) | instskip(SKIP_4) | instid1(VALU_DEP_1)
	v_add_nc_u32_e32 v32, s33, v28
	ds_load_b128 v[28:31], v29 offset:21296
	ds_load_b128 v[32:35], v32 offset:512
	s_wait_dscnt 0x0
	v_mul_f64_e32 v[44:45], v[30:31], v[34:35]
	v_fma_f64 v[94:95], v[28:29], v[32:33], -v[44:45]
	v_mul_f64_e32 v[28:29], v[28:29], v[34:35]
	s_delay_alu instid0(VALU_DEP_1) | instskip(SKIP_1) | instid1(VALU_DEP_1)
	v_fma_f64 v[96:97], v[30:31], v[32:33], v[28:29]
	v_add_nc_u32_e32 v28, v46, v27
	v_add_nc_u32_e32 v56, v28, v27
	v_lshrrev_b32_e32 v29, 1, v28
	v_lshrrev_b32_e32 v30, 6, v28
	v_and_b32_e32 v28, 31, v28
	s_delay_alu instid0(VALU_DEP_4) | instskip(NEXT) | instid1(VALU_DEP_4)
	v_lshrrev_b32_e32 v31, 6, v56
	v_and_b32_e32 v29, 0x1f0, v29
	s_delay_alu instid0(VALU_DEP_4) | instskip(NEXT) | instid1(VALU_DEP_4)
	v_and_b32_e32 v30, 0x1f0, v30
	v_lshl_add_u32 v32, v28, 4, 0
	s_delay_alu instid0(VALU_DEP_4) | instskip(NEXT) | instid1(VALU_DEP_4)
	v_and_b32_e32 v31, 0x1f0, v31
	v_add_nc_u32_e32 v29, s33, v29
	s_delay_alu instid0(VALU_DEP_4) | instskip(NEXT) | instid1(VALU_DEP_3)
	v_add_nc_u32_e32 v44, s33, v30
	v_add_nc_u32_e32 v50, s33, v31
	ds_load_b128 v[28:31], v29 offset:512
	ds_load_b128 v[32:35], v32 offset:21296
	ds_load_b128 v[44:47], v44 offset:1024
	ds_load_b128 v[50:53], v50 offset:1024
	s_wait_dscnt 0x2
	v_mul_f64_e32 v[54:55], v[34:35], v[30:31]
	v_mul_f64_e32 v[30:31], v[32:33], v[30:31]
	s_delay_alu instid0(VALU_DEP_2) | instskip(NEXT) | instid1(VALU_DEP_2)
	v_fma_f64 v[98:99], v[32:33], v[28:29], -v[54:55]
	v_fma_f64 v[100:101], v[34:35], v[28:29], v[30:31]
	v_lshrrev_b32_e32 v28, 1, v56
	v_and_b32_e32 v29, 31, v56
	s_delay_alu instid0(VALU_DEP_2) | instskip(NEXT) | instid1(VALU_DEP_2)
	v_and_b32_e32 v28, 0x1f0, v28
	v_lshl_add_u32 v29, v29, 4, 0
	s_delay_alu instid0(VALU_DEP_2) | instskip(SKIP_4) | instid1(VALU_DEP_1)
	v_add_nc_u32_e32 v32, s33, v28
	ds_load_b128 v[28:31], v29 offset:21296
	ds_load_b128 v[32:35], v32 offset:512
	s_wait_dscnt 0x0
	v_mul_f64_e32 v[54:55], v[30:31], v[34:35]
	v_fma_f64 v[102:103], v[28:29], v[32:33], -v[54:55]
	v_mul_f64_e32 v[28:29], v[28:29], v[34:35]
	s_delay_alu instid0(VALU_DEP_1) | instskip(SKIP_1) | instid1(VALU_DEP_1)
	v_fma_f64 v[104:105], v[30:31], v[32:33], v[28:29]
	v_add_nc_u32_e32 v28, v56, v27
	v_add_nc_u32_e32 v64, v28, v27
	v_lshrrev_b32_e32 v29, 1, v28
	v_lshrrev_b32_e32 v30, 6, v28
	v_and_b32_e32 v28, 31, v28
	s_delay_alu instid0(VALU_DEP_4) | instskip(NEXT) | instid1(VALU_DEP_4)
	v_lshrrev_b32_e32 v31, 6, v64
	v_and_b32_e32 v29, 0x1f0, v29
	s_delay_alu instid0(VALU_DEP_4) | instskip(NEXT) | instid1(VALU_DEP_4)
	v_and_b32_e32 v30, 0x1f0, v30
	v_lshl_add_u32 v32, v28, 4, 0
	s_delay_alu instid0(VALU_DEP_4) | instskip(NEXT) | instid1(VALU_DEP_4)
	v_and_b32_e32 v31, 0x1f0, v31
	v_add_nc_u32_e32 v29, s33, v29
	s_delay_alu instid0(VALU_DEP_4) | instskip(NEXT) | instid1(VALU_DEP_3)
	v_add_nc_u32_e32 v54, s33, v30
	;; [unrolled: 42-line block ×3, first 2 shown]
	v_add_nc_u32_e32 v66, s33, v30
	ds_load_b128 v[27:30], v29 offset:512
	ds_load_b128 v[31:34], v31 offset:21296
	;; [unrolled: 1-line block ×4, first 2 shown]
	s_wait_dscnt 0x2
	v_mul_f64_e32 v[70:71], v[33:34], v[29:30]
	v_mul_f64_e32 v[29:30], v[31:32], v[29:30]
	s_delay_alu instid0(VALU_DEP_2) | instskip(NEXT) | instid1(VALU_DEP_2)
	v_fma_f64 v[114:115], v[31:32], v[27:28], -v[70:71]
	v_fma_f64 v[116:117], v[33:34], v[27:28], v[29:30]
	v_lshrrev_b32_e32 v27, 1, v35
	v_and_b32_e32 v28, 31, v35
	s_delay_alu instid0(VALU_DEP_2) | instskip(NEXT) | instid1(VALU_DEP_2)
	v_and_b32_e32 v27, 0x1f0, v27
	v_lshl_add_u32 v28, v28, 4, 0
	s_delay_alu instid0(VALU_DEP_2) | instskip(SKIP_4) | instid1(VALU_DEP_1)
	v_add_nc_u32_e32 v31, s33, v27
	ds_load_b128 v[27:30], v28 offset:21296
	ds_load_b128 v[31:34], v31 offset:512
	s_wait_dscnt 0x0
	v_mul_f64_e32 v[70:71], v[29:30], v[33:34]
	v_fma_f64 v[118:119], v[27:28], v[31:32], -v[70:71]
	v_mul_f64_e32 v[27:28], v[27:28], v[33:34]
	s_delay_alu instid0(VALU_DEP_1) | instskip(SKIP_2) | instid1(VALU_DEP_1)
	v_fma_f64 v[34:35], v[29:30], v[31:32], v[27:28]
	v_mul_i32_i24_e32 v27, 0xfffff920, v49
	v_lshlrev_b32_e32 v28, 4, v48
	v_add3_u32 v49, v26, v27, v28
	v_mul_u32_u24_e32 v26, 10, v25
	v_mad_u32_u24 v25, 0x79, v0, v25
	s_delay_alu instid0(VALU_DEP_2)
	v_lshlrev_b32_e32 v140, 4, v26
	global_load_b128 v[26:29], v140, s[4:5]
	ds_load_b128 v[30:33], v49 offset:1936
	ds_load_b128 v[70:73], v49
	global_load_b128 v[74:77], v140, s[4:5] offset:16
	s_wait_loadcnt_dscnt 0x101
	v_mul_f64_e32 v[78:79], v[32:33], v[28:29]
	v_mul_f64_e32 v[28:29], v[30:31], v[28:29]
	s_delay_alu instid0(VALU_DEP_2)
	v_fma_f64 v[120:121], v[30:31], v[26:27], v[78:79]
	global_load_b128 v[78:81], v140, s[4:5] offset:128
	v_fma_f64 v[122:123], v[32:33], v[26:27], -v[28:29]
	global_load_b128 v[26:29], v140, s[4:5] offset:144
	ds_load_b128 v[30:33], v49 offset:19360
	s_wait_loadcnt_dscnt 0x0
	v_mul_f64_e32 v[82:83], v[32:33], v[28:29]
	v_mul_f64_e32 v[28:29], v[30:31], v[28:29]
	s_delay_alu instid0(VALU_DEP_2) | instskip(NEXT) | instid1(VALU_DEP_2)
	v_fma_f64 v[124:125], v[30:31], v[26:27], v[82:83]
	v_fma_f64 v[126:127], v[32:33], v[26:27], -v[28:29]
	s_clause 0x1
	global_load_b128 v[26:29], v140, s[4:5] offset:64
	global_load_b128 v[30:33], v140, s[4:5] offset:80
	ds_load_b128 v[82:85], v49 offset:9680
	ds_load_b128 v[86:89], v49 offset:7744
	s_wait_loadcnt_dscnt 0x101
	v_mul_f64_e32 v[128:129], v[84:85], v[28:29]
	v_mul_f64_e32 v[28:29], v[82:83], v[28:29]
	s_delay_alu instid0(VALU_DEP_2) | instskip(NEXT) | instid1(VALU_DEP_2)
	v_fma_f64 v[128:129], v[82:83], v[26:27], v[128:129]
	v_fma_f64 v[130:131], v[84:85], v[26:27], -v[28:29]
	ds_load_b128 v[26:29], v49 offset:11616
	ds_load_b128 v[82:85], v49 offset:13552
	s_wait_loadcnt_dscnt 0x1
	v_mul_f64_e32 v[132:133], v[28:29], v[32:33]
	s_delay_alu instid0(VALU_DEP_1) | instskip(SKIP_1) | instid1(VALU_DEP_1)
	v_fma_f64 v[132:133], v[26:27], v[30:31], v[132:133]
	v_mul_f64_e32 v[26:27], v[26:27], v[32:33]
	v_fma_f64 v[134:135], v[28:29], v[30:31], -v[26:27]
	s_clause 0x1
	global_load_b128 v[26:29], v140, s[4:5] offset:48
	global_load_b128 v[30:33], v140, s[4:5] offset:32
	s_wait_loadcnt 0x1
	v_mul_f64_e32 v[136:137], v[88:89], v[28:29]
	v_mul_f64_e32 v[28:29], v[86:87], v[28:29]
	s_delay_alu instid0(VALU_DEP_2) | instskip(NEXT) | instid1(VALU_DEP_2)
	v_fma_f64 v[136:137], v[86:87], v[26:27], v[136:137]
	v_fma_f64 v[138:139], v[88:89], v[26:27], -v[28:29]
	s_clause 0x1
	global_load_b128 v[26:29], v140, s[4:5] offset:96
	global_load_b128 v[86:89], v140, s[4:5] offset:112
	s_wait_loadcnt_dscnt 0x100
	v_mul_f64_e32 v[140:141], v[84:85], v[28:29]
	v_mul_f64_e32 v[28:29], v[82:83], v[28:29]
	s_delay_alu instid0(VALU_DEP_2) | instskip(NEXT) | instid1(VALU_DEP_2)
	v_fma_f64 v[140:141], v[82:83], v[26:27], v[140:141]
	v_fma_f64 v[142:143], v[84:85], v[26:27], -v[28:29]
	ds_load_b128 v[26:29], v49 offset:5808
	ds_load_b128 v[82:85], v49 offset:3872
	s_wait_dscnt 0x1
	v_mul_f64_e32 v[144:145], v[28:29], v[32:33]
	s_delay_alu instid0(VALU_DEP_1) | instskip(SKIP_1) | instid1(VALU_DEP_1)
	v_fma_f64 v[144:145], v[26:27], v[30:31], v[144:145]
	v_mul_f64_e32 v[26:27], v[26:27], v[32:33]
	v_fma_f64 v[146:147], v[28:29], v[30:31], -v[26:27]
	ds_load_b128 v[26:29], v49 offset:15488
	ds_load_b128 v[30:33], v49 offset:17424
	s_wait_loadcnt_dscnt 0x1
	v_mul_f64_e32 v[148:149], v[28:29], v[88:89]
	s_delay_alu instid0(VALU_DEP_1) | instskip(SKIP_1) | instid1(VALU_DEP_1)
	v_fma_f64 v[148:149], v[26:27], v[86:87], v[148:149]
	v_mul_f64_e32 v[26:27], v[26:27], v[88:89]
	v_fma_f64 v[86:87], v[28:29], v[86:87], -v[26:27]
	v_mul_f64_e32 v[26:27], v[84:85], v[76:77]
	s_delay_alu instid0(VALU_DEP_1) | instskip(SKIP_1) | instid1(VALU_DEP_1)
	v_fma_f64 v[88:89], v[82:83], v[74:75], v[26:27]
	v_mul_f64_e32 v[26:27], v[82:83], v[76:77]
	v_fma_f64 v[74:75], v[84:85], v[74:75], -v[26:27]
	s_wait_dscnt 0x0
	v_mul_f64_e32 v[26:27], v[32:33], v[80:81]
	s_delay_alu instid0(VALU_DEP_1) | instskip(SKIP_1) | instid1(VALU_DEP_1)
	v_fma_f64 v[76:77], v[30:31], v[78:79], v[26:27]
	v_mul_f64_e32 v[26:27], v[30:31], v[80:81]
	v_fma_f64 v[78:79], v[32:33], v[78:79], -v[26:27]
	v_mul_f64_e32 v[26:27], v[15:16], v[3:4]
	v_mul_f64_e32 v[3:4], v[13:14], v[3:4]
	s_delay_alu instid0(VALU_DEP_2) | instskip(NEXT) | instid1(VALU_DEP_2)
	v_fma_f64 v[80:81], v[1:2], v[13:14], -v[26:27]
	v_fma_f64 v[82:83], v[1:2], v[15:16], v[3:4]
	v_mul_f64_e32 v[1:2], v[19:20], v[11:12]
	v_mul_f64_e32 v[3:4], v[17:18], v[11:12]
	s_delay_alu instid0(VALU_DEP_2) | instskip(NEXT) | instid1(VALU_DEP_2)
	v_fma_f64 v[1:2], v[9:10], v[17:18], -v[1:2]
	v_fma_f64 v[3:4], v[9:10], v[19:20], v[3:4]
	;; [unrolled: 5-line block ×3, first 2 shown]
	v_mul_f64_e32 v[5:6], v[90:91], v[38:39]
	v_mul_f64_e32 v[7:8], v[34:35], v[68:69]
	s_delay_alu instid0(VALU_DEP_2) | instskip(SKIP_1) | instid1(VALU_DEP_3)
	v_fma_f64 v[152:153], v[36:37], v[92:93], v[5:6]
	v_mul_f64_e32 v[5:6], v[92:93], v[38:39]
	v_fma_f64 v[11:12], v[66:67], v[118:119], -v[7:8]
	s_delay_alu instid0(VALU_DEP_2) | instskip(SKIP_1) | instid1(VALU_DEP_1)
	v_fma_f64 v[38:39], v[36:37], v[90:91], -v[5:6]
	v_mul_f64_e32 v[5:6], v[94:95], v[42:43]
	v_fma_f64 v[30:31], v[40:41], v[96:97], v[5:6]
	v_mul_f64_e32 v[5:6], v[96:97], v[42:43]
	s_delay_alu instid0(VALU_DEP_1) | instskip(SKIP_3) | instid1(VALU_DEP_3)
	v_fma_f64 v[36:37], v[40:41], v[94:95], -v[5:6]
	v_mul_f64_e32 v[5:6], v[98:99], v[46:47]
	v_add_f64_e32 v[40:41], v[122:123], v[126:127]
	v_add_f64_e32 v[94:95], v[144:145], v[148:149]
	v_fma_f64 v[26:27], v[44:45], v[100:101], v[5:6]
	v_mul_f64_e32 v[5:6], v[100:101], v[46:47]
	v_add_f64_e32 v[46:47], v[74:75], v[78:79]
	v_add_f64_e32 v[100:101], v[138:139], v[142:143]
	s_delay_alu instid0(VALU_DEP_3) | instskip(SKIP_2) | instid1(VALU_DEP_2)
	v_fma_f64 v[32:33], v[44:45], v[98:99], -v[5:6]
	v_mul_f64_e32 v[5:6], v[102:103], v[52:53]
	v_add_f64_e64 v[44:45], v[88:89], -v[76:77]
	v_fma_f64 v[21:22], v[50:51], v[104:105], v[5:6]
	v_mul_f64_e32 v[5:6], v[104:105], v[52:53]
	s_delay_alu instid0(VALU_DEP_1) | instskip(SKIP_2) | instid1(VALU_DEP_2)
	v_fma_f64 v[28:29], v[50:51], v[102:103], -v[5:6]
	v_mul_f64_e32 v[5:6], v[106:107], v[56:57]
	v_mul_f64_e32 v[49:50], s[26:27], v[44:45]
	v_fma_f64 v[17:18], v[54:55], v[108:109], v[5:6]
	v_mul_f64_e32 v[5:6], v[108:109], v[56:57]
	s_delay_alu instid0(VALU_DEP_3) | instskip(NEXT) | instid1(VALU_DEP_2)
	v_fma_f64 v[51:52], v[46:47], s[8:9], v[49:50]
	v_fma_f64 v[23:24], v[54:55], v[106:107], -v[5:6]
	v_mul_f64_e32 v[5:6], v[110:111], v[60:61]
	v_add_f64_e32 v[53:54], v[120:121], v[124:125]
	v_add_f64_e32 v[106:107], v[136:137], v[140:141]
	s_delay_alu instid0(VALU_DEP_3) | instskip(SKIP_2) | instid1(VALU_DEP_2)
	v_fma_f64 v[13:14], v[58:59], v[112:113], v[5:6]
	v_mul_f64_e32 v[5:6], v[112:113], v[60:61]
	v_add_f64_e32 v[112:113], v[128:129], v[132:133]
	v_fma_f64 v[19:20], v[58:59], v[110:111], -v[5:6]
	v_mul_f64_e32 v[5:6], v[114:115], v[64:65]
	v_add_f64_e64 v[59:60], v[74:75], -v[78:79]
	s_delay_alu instid0(VALU_DEP_2) | instskip(SKIP_1) | instid1(VALU_DEP_3)
	v_fma_f64 v[9:10], v[62:63], v[116:117], v[5:6]
	v_mul_f64_e32 v[5:6], v[116:117], v[64:65]
	v_mul_f64_e32 v[162:163], s[38:39], v[59:60]
	;; [unrolled: 1-line block ×3, first 2 shown]
	s_delay_alu instid0(VALU_DEP_3) | instskip(SKIP_4) | instid1(VALU_DEP_4)
	v_fma_f64 v[15:16], v[62:63], v[114:115], -v[5:6]
	v_mul_f64_e32 v[5:6], v[118:119], v[68:69]
	v_add_f64_e32 v[61:62], v[88:89], v[76:77]
	v_mul_f64_e32 v[63:64], s[26:27], v[59:60]
	v_add_f64_e32 v[118:119], v[130:131], v[134:135]
	v_fma_f64 v[5:6], v[66:67], v[34:35], v[5:6]
	v_add_f64_e64 v[34:35], v[120:121], -v[124:125]
	s_delay_alu instid0(VALU_DEP_4) | instskip(SKIP_4) | instid1(VALU_DEP_1)
	v_fma_f64 v[65:66], v[61:62], s[8:9], -v[63:64]
	v_add_f64_e32 v[67:68], v[146:147], v[86:87]
	v_fma_f64 v[164:165], v[61:62], s[28:29], v[162:163]
	v_fma_f64 v[184:185], v[61:62], s[10:11], v[182:183]
	v_mul_f64_e32 v[7:8], s[20:21], v[34:35]
	v_fma_f64 v[42:43], v[40:41], s[6:7], v[7:8]
	v_fma_f64 v[7:8], v[40:41], s[6:7], -v[7:8]
	s_delay_alu instid0(VALU_DEP_2) | instskip(NEXT) | instid1(VALU_DEP_2)
	v_add_f64_e32 v[42:43], v[72:73], v[42:43]
	v_add_f64_e32 v[7:8], v[72:73], v[7:8]
	s_delay_alu instid0(VALU_DEP_2) | instskip(SKIP_1) | instid1(VALU_DEP_1)
	v_add_f64_e32 v[42:43], v[51:52], v[42:43]
	v_add_f64_e64 v[51:52], v[122:123], -v[126:127]
	v_mul_f64_e32 v[55:56], s[20:21], v[51:52]
	s_delay_alu instid0(VALU_DEP_1) | instskip(NEXT) | instid1(VALU_DEP_1)
	v_fma_f64 v[57:58], v[53:54], s[6:7], -v[55:56]
	v_add_f64_e32 v[57:58], v[70:71], v[57:58]
	s_delay_alu instid0(VALU_DEP_1) | instskip(SKIP_1) | instid1(VALU_DEP_1)
	v_add_f64_e32 v[57:58], v[65:66], v[57:58]
	v_add_f64_e64 v[65:66], v[144:145], -v[148:149]
	v_mul_f64_e32 v[90:91], s[18:19], v[65:66]
	s_delay_alu instid0(VALU_DEP_1) | instskip(NEXT) | instid1(VALU_DEP_1)
	v_fma_f64 v[92:93], v[67:68], s[10:11], v[90:91]
	v_add_f64_e32 v[42:43], v[92:93], v[42:43]
	v_add_f64_e64 v[92:93], v[146:147], -v[86:87]
	s_delay_alu instid0(VALU_DEP_1) | instskip(NEXT) | instid1(VALU_DEP_1)
	v_mul_f64_e32 v[96:97], s[18:19], v[92:93]
	v_fma_f64 v[98:99], v[94:95], s[10:11], -v[96:97]
	s_delay_alu instid0(VALU_DEP_1) | instskip(SKIP_1) | instid1(VALU_DEP_1)
	v_add_f64_e32 v[57:58], v[98:99], v[57:58]
	v_add_f64_e64 v[98:99], v[136:137], -v[140:141]
	v_mul_f64_e32 v[102:103], s[22:23], v[98:99]
	s_delay_alu instid0(VALU_DEP_1) | instskip(NEXT) | instid1(VALU_DEP_1)
	v_fma_f64 v[104:105], v[100:101], s[16:17], v[102:103]
	v_add_f64_e32 v[42:43], v[104:105], v[42:43]
	v_add_f64_e64 v[104:105], v[138:139], -v[142:143]
	s_delay_alu instid0(VALU_DEP_1) | instskip(NEXT) | instid1(VALU_DEP_1)
	v_mul_f64_e32 v[108:109], s[22:23], v[104:105]
	v_fma_f64 v[110:111], v[106:107], s[16:17], -v[108:109]
	s_delay_alu instid0(VALU_DEP_1) | instskip(SKIP_1) | instid1(VALU_DEP_1)
	v_add_f64_e32 v[57:58], v[110:111], v[57:58]
	v_add_f64_e64 v[110:111], v[130:131], -v[134:135]
	v_mul_f64_e32 v[114:115], s[24:25], v[110:111]
	s_delay_alu instid0(VALU_DEP_1) | instskip(NEXT) | instid1(VALU_DEP_1)
	v_fma_f64 v[116:117], v[112:113], s[28:29], -v[114:115]
	v_add_f64_e32 v[57:58], v[116:117], v[57:58]
	v_add_f64_e64 v[116:117], v[128:129], -v[132:133]
	s_delay_alu instid0(VALU_DEP_1) | instskip(NEXT) | instid1(VALU_DEP_1)
	v_mul_f64_e32 v[154:155], s[24:25], v[116:117]
	v_fma_f64 v[156:157], v[118:119], s[28:29], v[154:155]
	s_delay_alu instid0(VALU_DEP_1) | instskip(SKIP_1) | instid1(VALU_DEP_2)
	v_add_f64_e32 v[42:43], v[156:157], v[42:43]
	v_mul_f64_e32 v[156:157], v[57:58], v[3:4]
	v_mul_f64_e32 v[158:159], v[42:43], v[3:4]
	s_delay_alu instid0(VALU_DEP_2)
	v_fma_f64 v[3:4], v[42:43], v[1:2], -v[156:157]
	v_fma_f64 v[42:43], v[46:47], s[8:9], -v[49:50]
	v_fma_f64 v[49:50], v[61:62], s[8:9], v[63:64]
	v_mul_f64_e32 v[63:64], s[22:23], v[59:60]
	v_mul_f64_e32 v[59:60], s[30:31], v[59:60]
	v_fma_f64 v[1:2], v[57:58], v[1:2], v[158:159]
	v_add_f64_e32 v[7:8], v[42:43], v[7:8]
	v_fma_f64 v[42:43], v[53:54], s[6:7], v[55:56]
	s_delay_alu instid0(VALU_DEP_1) | instskip(NEXT) | instid1(VALU_DEP_1)
	v_add_f64_e32 v[42:43], v[70:71], v[42:43]
	v_add_f64_e32 v[42:43], v[49:50], v[42:43]
	v_fma_f64 v[49:50], v[67:68], s[10:11], -v[90:91]
	v_fma_f64 v[90:91], v[61:62], s[16:17], v[63:64]
	s_delay_alu instid0(VALU_DEP_2) | instskip(SKIP_1) | instid1(VALU_DEP_1)
	v_add_f64_e32 v[7:8], v[49:50], v[7:8]
	v_fma_f64 v[49:50], v[94:95], s[10:11], v[96:97]
	v_add_f64_e32 v[42:43], v[49:50], v[42:43]
	v_fma_f64 v[49:50], v[100:101], s[16:17], -v[102:103]
	s_delay_alu instid0(VALU_DEP_1) | instskip(SKIP_1) | instid1(VALU_DEP_1)
	v_add_f64_e32 v[7:8], v[49:50], v[7:8]
	v_fma_f64 v[49:50], v[106:107], s[16:17], v[108:109]
	v_add_f64_e32 v[42:43], v[49:50], v[42:43]
	v_fma_f64 v[49:50], v[112:113], s[28:29], v[114:115]
	s_delay_alu instid0(VALU_DEP_1) | instskip(SKIP_1) | instid1(VALU_DEP_1)
	v_add_f64_e32 v[42:43], v[49:50], v[42:43]
	v_fma_f64 v[49:50], v[118:119], s[28:29], -v[154:155]
	v_add_f64_e32 v[7:8], v[49:50], v[7:8]
	s_delay_alu instid0(VALU_DEP_3) | instskip(NEXT) | instid1(VALU_DEP_2)
	v_mul_f64_e32 v[49:50], v[42:43], v[5:6]
	v_mul_f64_e32 v[5:6], v[7:8], v[5:6]
	s_delay_alu instid0(VALU_DEP_2) | instskip(SKIP_1) | instid1(VALU_DEP_3)
	v_fma_f64 v[7:8], v[7:8], v[11:12], -v[49:50]
	v_mul_f64_e32 v[49:50], s[22:23], v[44:45]
	v_fma_f64 v[5:6], v[42:43], v[11:12], v[5:6]
	v_mul_f64_e32 v[42:43], s[26:27], v[34:35]
	s_delay_alu instid0(VALU_DEP_3) | instskip(NEXT) | instid1(VALU_DEP_2)
	v_fma_f64 v[55:56], v[46:47], s[16:17], -v[49:50]
	v_fma_f64 v[11:12], v[40:41], s[8:9], -v[42:43]
	s_delay_alu instid0(VALU_DEP_1) | instskip(NEXT) | instid1(VALU_DEP_1)
	v_add_f64_e32 v[11:12], v[72:73], v[11:12]
	v_add_f64_e32 v[11:12], v[55:56], v[11:12]
	v_mul_f64_e32 v[55:56], s[26:27], v[51:52]
	s_delay_alu instid0(VALU_DEP_1) | instskip(NEXT) | instid1(VALU_DEP_1)
	v_fma_f64 v[57:58], v[53:54], s[8:9], v[55:56]
	v_add_f64_e32 v[57:58], v[70:71], v[57:58]
	s_delay_alu instid0(VALU_DEP_1) | instskip(SKIP_1) | instid1(VALU_DEP_1)
	v_add_f64_e32 v[57:58], v[90:91], v[57:58]
	v_mul_f64_e32 v[90:91], s[38:39], v[65:66]
	v_fma_f64 v[96:97], v[67:68], s[28:29], -v[90:91]
	s_delay_alu instid0(VALU_DEP_1) | instskip(SKIP_1) | instid1(VALU_DEP_1)
	v_add_f64_e32 v[11:12], v[96:97], v[11:12]
	v_mul_f64_e32 v[96:97], s[38:39], v[92:93]
	v_fma_f64 v[102:103], v[94:95], s[28:29], v[96:97]
	s_delay_alu instid0(VALU_DEP_1) | instskip(SKIP_1) | instid1(VALU_DEP_1)
	v_add_f64_e32 v[57:58], v[102:103], v[57:58]
	v_mul_f64_e32 v[102:103], s[34:35], v[98:99]
	v_fma_f64 v[108:109], v[100:101], s[10:11], -v[102:103]
	s_delay_alu instid0(VALU_DEP_1) | instskip(SKIP_1) | instid1(VALU_DEP_1)
	v_add_f64_e32 v[11:12], v[108:109], v[11:12]
	v_mul_f64_e32 v[108:109], s[34:35], v[104:105]
	v_fma_f64 v[114:115], v[106:107], s[10:11], v[108:109]
	s_delay_alu instid0(VALU_DEP_1) | instskip(SKIP_1) | instid1(VALU_DEP_1)
	v_add_f64_e32 v[57:58], v[114:115], v[57:58]
	v_mul_f64_e32 v[114:115], s[30:31], v[110:111]
	v_fma_f64 v[154:155], v[112:113], s[6:7], v[114:115]
	s_delay_alu instid0(VALU_DEP_1) | instskip(SKIP_1) | instid1(VALU_DEP_1)
	v_add_f64_e32 v[57:58], v[154:155], v[57:58]
	v_mul_f64_e32 v[154:155], s[30:31], v[116:117]
	v_fma_f64 v[156:157], v[118:119], s[6:7], -v[154:155]
	s_delay_alu instid0(VALU_DEP_1) | instskip(NEXT) | instid1(VALU_DEP_4)
	v_add_f64_e32 v[11:12], v[156:157], v[11:12]
	v_mul_f64_e32 v[156:157], v[57:58], v[9:10]
	s_delay_alu instid0(VALU_DEP_2) | instskip(NEXT) | instid1(VALU_DEP_2)
	v_mul_f64_e32 v[9:10], v[11:12], v[9:10]
	v_fma_f64 v[11:12], v[11:12], v[15:16], -v[156:157]
	v_mul_f64_e32 v[156:157], s[38:39], v[44:45]
	s_delay_alu instid0(VALU_DEP_3) | instskip(SKIP_1) | instid1(VALU_DEP_3)
	v_fma_f64 v[9:10], v[57:58], v[15:16], v[9:10]
	v_mul_f64_e32 v[57:58], s[18:19], v[34:35]
	v_fma_f64 v[158:159], v[46:47], s[28:29], -v[156:157]
	s_delay_alu instid0(VALU_DEP_2) | instskip(NEXT) | instid1(VALU_DEP_1)
	v_fma_f64 v[15:16], v[40:41], s[10:11], -v[57:58]
	v_add_f64_e32 v[15:16], v[72:73], v[15:16]
	s_delay_alu instid0(VALU_DEP_1) | instskip(SKIP_1) | instid1(VALU_DEP_1)
	v_add_f64_e32 v[15:16], v[158:159], v[15:16]
	v_mul_f64_e32 v[158:159], s[18:19], v[51:52]
	v_fma_f64 v[160:161], v[53:54], s[10:11], v[158:159]
	s_delay_alu instid0(VALU_DEP_1) | instskip(NEXT) | instid1(VALU_DEP_1)
	v_add_f64_e32 v[160:161], v[70:71], v[160:161]
	v_add_f64_e32 v[160:161], v[164:165], v[160:161]
	v_mul_f64_e32 v[164:165], s[36:37], v[65:66]
	s_delay_alu instid0(VALU_DEP_1) | instskip(NEXT) | instid1(VALU_DEP_1)
	v_fma_f64 v[166:167], v[67:68], s[8:9], -v[164:165]
	v_add_f64_e32 v[15:16], v[166:167], v[15:16]
	v_mul_f64_e32 v[166:167], s[36:37], v[92:93]
	s_delay_alu instid0(VALU_DEP_1) | instskip(NEXT) | instid1(VALU_DEP_1)
	v_fma_f64 v[168:169], v[94:95], s[8:9], v[166:167]
	v_add_f64_e32 v[160:161], v[168:169], v[160:161]
	v_mul_f64_e32 v[168:169], s[20:21], v[98:99]
	s_delay_alu instid0(VALU_DEP_1) | instskip(NEXT) | instid1(VALU_DEP_1)
	v_fma_f64 v[170:171], v[100:101], s[6:7], -v[168:169]
	v_add_f64_e32 v[15:16], v[170:171], v[15:16]
	v_mul_f64_e32 v[170:171], s[20:21], v[104:105]
	s_delay_alu instid0(VALU_DEP_1) | instskip(NEXT) | instid1(VALU_DEP_1)
	v_fma_f64 v[172:173], v[106:107], s[6:7], v[170:171]
	v_add_f64_e32 v[160:161], v[172:173], v[160:161]
	v_mul_f64_e32 v[172:173], s[22:23], v[110:111]
	s_delay_alu instid0(VALU_DEP_1) | instskip(NEXT) | instid1(VALU_DEP_1)
	v_fma_f64 v[174:175], v[112:113], s[16:17], v[172:173]
	v_add_f64_e32 v[160:161], v[174:175], v[160:161]
	v_mul_f64_e32 v[174:175], s[22:23], v[116:117]
	s_delay_alu instid0(VALU_DEP_1) | instskip(NEXT) | instid1(VALU_DEP_1)
	v_fma_f64 v[176:177], v[118:119], s[16:17], -v[174:175]
	v_add_f64_e32 v[15:16], v[176:177], v[15:16]
	s_delay_alu instid0(VALU_DEP_4) | instskip(NEXT) | instid1(VALU_DEP_2)
	v_mul_f64_e32 v[176:177], v[160:161], v[13:14]
	v_mul_f64_e32 v[13:14], v[15:16], v[13:14]
	s_delay_alu instid0(VALU_DEP_2) | instskip(SKIP_2) | instid1(VALU_DEP_4)
	v_fma_f64 v[15:16], v[15:16], v[19:20], -v[176:177]
	v_mul_f64_e32 v[176:177], s[34:35], v[44:45]
	v_mul_f64_e32 v[44:45], s[30:31], v[44:45]
	v_fma_f64 v[13:14], v[160:161], v[19:20], v[13:14]
	v_mul_f64_e32 v[160:161], s[22:23], v[34:35]
	s_delay_alu instid0(VALU_DEP_4) | instskip(SKIP_1) | instid1(VALU_DEP_3)
	v_fma_f64 v[178:179], v[46:47], s[10:11], -v[176:177]
	v_mul_f64_e32 v[34:35], s[24:25], v[34:35]
	v_fma_f64 v[19:20], v[40:41], s[16:17], -v[160:161]
	s_delay_alu instid0(VALU_DEP_1) | instskip(NEXT) | instid1(VALU_DEP_1)
	v_add_f64_e32 v[19:20], v[72:73], v[19:20]
	v_add_f64_e32 v[19:20], v[178:179], v[19:20]
	v_mul_f64_e32 v[178:179], s[22:23], v[51:52]
	v_mul_f64_e32 v[51:52], s[24:25], v[51:52]
	s_delay_alu instid0(VALU_DEP_2) | instskip(NEXT) | instid1(VALU_DEP_1)
	v_fma_f64 v[180:181], v[53:54], s[16:17], v[178:179]
	v_add_f64_e32 v[180:181], v[70:71], v[180:181]
	s_delay_alu instid0(VALU_DEP_1) | instskip(SKIP_2) | instid1(VALU_DEP_2)
	v_add_f64_e32 v[180:181], v[184:185], v[180:181]
	v_mul_f64_e32 v[184:185], s[20:21], v[65:66]
	v_mul_f64_e32 v[65:66], s[22:23], v[65:66]
	v_fma_f64 v[186:187], v[67:68], s[6:7], -v[184:185]
	s_delay_alu instid0(VALU_DEP_1) | instskip(SKIP_2) | instid1(VALU_DEP_2)
	v_add_f64_e32 v[19:20], v[186:187], v[19:20]
	v_mul_f64_e32 v[186:187], s[20:21], v[92:93]
	v_mul_f64_e32 v[92:93], s[22:23], v[92:93]
	v_fma_f64 v[188:189], v[94:95], s[6:7], v[186:187]
	s_delay_alu instid0(VALU_DEP_1) | instskip(SKIP_2) | instid1(VALU_DEP_2)
	v_add_f64_e32 v[180:181], v[188:189], v[180:181]
	v_mul_f64_e32 v[188:189], s[24:25], v[98:99]
	v_mul_f64_e32 v[98:99], s[36:37], v[98:99]
	v_fma_f64 v[190:191], v[100:101], s[28:29], -v[188:189]
	s_delay_alu instid0(VALU_DEP_1) | instskip(SKIP_2) | instid1(VALU_DEP_2)
	v_add_f64_e32 v[19:20], v[190:191], v[19:20]
	v_mul_f64_e32 v[190:191], s[24:25], v[104:105]
	v_mul_f64_e32 v[104:105], s[36:37], v[104:105]
	v_fma_f64 v[192:193], v[106:107], s[28:29], v[190:191]
	s_delay_alu instid0(VALU_DEP_1) | instskip(SKIP_2) | instid1(VALU_DEP_2)
	v_add_f64_e32 v[180:181], v[192:193], v[180:181]
	v_mul_f64_e32 v[192:193], s[36:37], v[110:111]
	v_mul_f64_e32 v[110:111], s[18:19], v[110:111]
	v_fma_f64 v[194:195], v[112:113], s[8:9], v[192:193]
	s_delay_alu instid0(VALU_DEP_1) | instskip(SKIP_2) | instid1(VALU_DEP_2)
	v_add_f64_e32 v[180:181], v[194:195], v[180:181]
	v_mul_f64_e32 v[194:195], s[36:37], v[116:117]
	v_mul_f64_e32 v[116:117], s[18:19], v[116:117]
	v_fma_f64 v[196:197], v[118:119], s[8:9], -v[194:195]
	s_delay_alu instid0(VALU_DEP_1) | instskip(SKIP_1) | instid1(VALU_DEP_2)
	v_add_f64_e32 v[19:20], v[196:197], v[19:20]
	v_mul_f64_e32 v[196:197], v[180:181], v[17:18]
	v_mul_f64_e32 v[17:18], v[19:20], v[17:18]
	s_delay_alu instid0(VALU_DEP_2) | instskip(SKIP_1) | instid1(VALU_DEP_3)
	v_fma_f64 v[19:20], v[19:20], v[23:24], -v[196:197]
	v_fma_f64 v[196:197], v[61:62], s[6:7], v[59:60]
	v_fma_f64 v[17:18], v[180:181], v[23:24], v[17:18]
	v_fma_f64 v[23:24], v[40:41], s[28:29], -v[34:35]
	v_fma_f64 v[180:181], v[46:47], s[6:7], -v[44:45]
	s_delay_alu instid0(VALU_DEP_2) | instskip(NEXT) | instid1(VALU_DEP_1)
	v_add_f64_e32 v[23:24], v[72:73], v[23:24]
	v_add_f64_e32 v[23:24], v[180:181], v[23:24]
	v_fma_f64 v[180:181], v[53:54], s[28:29], v[51:52]
	s_delay_alu instid0(VALU_DEP_1) | instskip(NEXT) | instid1(VALU_DEP_1)
	v_add_f64_e32 v[180:181], v[70:71], v[180:181]
	v_add_f64_e32 v[180:181], v[196:197], v[180:181]
	v_fma_f64 v[196:197], v[67:68], s[16:17], -v[65:66]
	s_delay_alu instid0(VALU_DEP_1) | instskip(SKIP_1) | instid1(VALU_DEP_1)
	v_add_f64_e32 v[23:24], v[196:197], v[23:24]
	v_fma_f64 v[196:197], v[94:95], s[16:17], v[92:93]
	v_add_f64_e32 v[180:181], v[196:197], v[180:181]
	v_fma_f64 v[196:197], v[100:101], s[8:9], -v[98:99]
	s_delay_alu instid0(VALU_DEP_1) | instskip(SKIP_1) | instid1(VALU_DEP_1)
	v_add_f64_e32 v[23:24], v[196:197], v[23:24]
	v_fma_f64 v[196:197], v[106:107], s[8:9], v[104:105]
	v_add_f64_e32 v[180:181], v[196:197], v[180:181]
	v_fma_f64 v[196:197], v[112:113], s[10:11], v[110:111]
	s_delay_alu instid0(VALU_DEP_1) | instskip(SKIP_1) | instid1(VALU_DEP_1)
	v_add_f64_e32 v[180:181], v[196:197], v[180:181]
	v_fma_f64 v[196:197], v[118:119], s[10:11], -v[116:117]
	v_add_f64_e32 v[23:24], v[196:197], v[23:24]
	s_delay_alu instid0(VALU_DEP_3) | instskip(NEXT) | instid1(VALU_DEP_2)
	v_mul_f64_e32 v[196:197], v[180:181], v[21:22]
	v_mul_f64_e32 v[21:22], v[23:24], v[21:22]
	s_delay_alu instid0(VALU_DEP_2) | instskip(NEXT) | instid1(VALU_DEP_2)
	v_fma_f64 v[23:24], v[23:24], v[28:29], -v[196:197]
	v_fma_f64 v[21:22], v[180:181], v[28:29], v[21:22]
	v_fma_f64 v[28:29], v[40:41], s[28:29], v[34:35]
	;; [unrolled: 1-line block ×3, first 2 shown]
	v_fma_f64 v[44:45], v[61:62], s[6:7], -v[59:60]
	s_delay_alu instid0(VALU_DEP_3) | instskip(NEXT) | instid1(VALU_DEP_1)
	v_add_f64_e32 v[28:29], v[72:73], v[28:29]
	v_add_f64_e32 v[28:29], v[34:35], v[28:29]
	v_fma_f64 v[34:35], v[53:54], s[28:29], -v[51:52]
	s_delay_alu instid0(VALU_DEP_1) | instskip(NEXT) | instid1(VALU_DEP_1)
	v_add_f64_e32 v[34:35], v[70:71], v[34:35]
	v_add_f64_e32 v[34:35], v[44:45], v[34:35]
	v_fma_f64 v[44:45], v[67:68], s[16:17], v[65:66]
	s_delay_alu instid0(VALU_DEP_1) | instskip(SKIP_1) | instid1(VALU_DEP_1)
	v_add_f64_e32 v[28:29], v[44:45], v[28:29]
	v_fma_f64 v[44:45], v[94:95], s[16:17], -v[92:93]
	v_add_f64_e32 v[34:35], v[44:45], v[34:35]
	v_fma_f64 v[44:45], v[100:101], s[8:9], v[98:99]
	s_delay_alu instid0(VALU_DEP_1) | instskip(SKIP_1) | instid1(VALU_DEP_1)
	v_add_f64_e32 v[28:29], v[44:45], v[28:29]
	v_fma_f64 v[44:45], v[106:107], s[8:9], -v[104:105]
	v_add_f64_e32 v[34:35], v[44:45], v[34:35]
	v_fma_f64 v[44:45], v[112:113], s[10:11], -v[110:111]
	s_delay_alu instid0(VALU_DEP_1) | instskip(SKIP_1) | instid1(VALU_DEP_1)
	v_add_f64_e32 v[34:35], v[44:45], v[34:35]
	v_fma_f64 v[44:45], v[118:119], s[10:11], v[116:117]
	v_add_f64_e32 v[28:29], v[44:45], v[28:29]
	s_delay_alu instid0(VALU_DEP_3) | instskip(NEXT) | instid1(VALU_DEP_2)
	v_mul_f64_e32 v[44:45], v[34:35], v[26:27]
	v_mul_f64_e32 v[26:27], v[28:29], v[26:27]
	s_delay_alu instid0(VALU_DEP_2) | instskip(SKIP_1) | instid1(VALU_DEP_3)
	v_fma_f64 v[28:29], v[28:29], v[32:33], -v[44:45]
	v_fma_f64 v[44:45], v[61:62], s[10:11], -v[182:183]
	v_fma_f64 v[26:27], v[34:35], v[32:33], v[26:27]
	v_fma_f64 v[32:33], v[40:41], s[16:17], v[160:161]
	;; [unrolled: 1-line block ×3, first 2 shown]
	s_delay_alu instid0(VALU_DEP_2) | instskip(NEXT) | instid1(VALU_DEP_1)
	v_add_f64_e32 v[32:33], v[72:73], v[32:33]
	v_add_f64_e32 v[32:33], v[34:35], v[32:33]
	v_fma_f64 v[34:35], v[53:54], s[16:17], -v[178:179]
	s_delay_alu instid0(VALU_DEP_1) | instskip(NEXT) | instid1(VALU_DEP_1)
	v_add_f64_e32 v[34:35], v[70:71], v[34:35]
	v_add_f64_e32 v[34:35], v[44:45], v[34:35]
	v_fma_f64 v[44:45], v[67:68], s[6:7], v[184:185]
	s_delay_alu instid0(VALU_DEP_1) | instskip(SKIP_1) | instid1(VALU_DEP_1)
	v_add_f64_e32 v[32:33], v[44:45], v[32:33]
	v_fma_f64 v[44:45], v[94:95], s[6:7], -v[186:187]
	v_add_f64_e32 v[34:35], v[44:45], v[34:35]
	v_fma_f64 v[44:45], v[100:101], s[28:29], v[188:189]
	s_delay_alu instid0(VALU_DEP_1) | instskip(SKIP_1) | instid1(VALU_DEP_1)
	v_add_f64_e32 v[32:33], v[44:45], v[32:33]
	v_fma_f64 v[44:45], v[106:107], s[28:29], -v[190:191]
	v_add_f64_e32 v[34:35], v[44:45], v[34:35]
	v_fma_f64 v[44:45], v[112:113], s[8:9], -v[192:193]
	s_delay_alu instid0(VALU_DEP_1) | instskip(SKIP_1) | instid1(VALU_DEP_1)
	v_add_f64_e32 v[34:35], v[44:45], v[34:35]
	v_fma_f64 v[44:45], v[118:119], s[8:9], v[194:195]
	v_add_f64_e32 v[32:33], v[44:45], v[32:33]
	s_delay_alu instid0(VALU_DEP_3) | instskip(NEXT) | instid1(VALU_DEP_2)
	v_mul_f64_e32 v[44:45], v[34:35], v[30:31]
	v_mul_f64_e32 v[30:31], v[32:33], v[30:31]
	s_delay_alu instid0(VALU_DEP_2) | instskip(SKIP_1) | instid1(VALU_DEP_3)
	v_fma_f64 v[32:33], v[32:33], v[36:37], -v[44:45]
	v_fma_f64 v[44:45], v[46:47], s[28:29], v[156:157]
	v_fma_f64 v[30:31], v[34:35], v[36:37], v[30:31]
	v_fma_f64 v[34:35], v[53:54], s[10:11], -v[158:159]
	v_fma_f64 v[36:37], v[61:62], s[28:29], -v[162:163]
	s_delay_alu instid0(VALU_DEP_2) | instskip(NEXT) | instid1(VALU_DEP_1)
	v_add_f64_e32 v[34:35], v[70:71], v[34:35]
	v_add_f64_e32 v[34:35], v[36:37], v[34:35]
	v_fma_f64 v[36:37], v[40:41], s[10:11], v[57:58]
	v_fma_f64 v[40:41], v[40:41], s[8:9], v[42:43]
	;; [unrolled: 1-line block ×3, first 2 shown]
	s_delay_alu instid0(VALU_DEP_3) | instskip(NEXT) | instid1(VALU_DEP_3)
	v_add_f64_e32 v[36:37], v[72:73], v[36:37]
	v_add_f64_e32 v[40:41], v[72:73], v[40:41]
	s_delay_alu instid0(VALU_DEP_2) | instskip(SKIP_1) | instid1(VALU_DEP_1)
	v_add_f64_e32 v[36:37], v[44:45], v[36:37]
	v_fma_f64 v[44:45], v[94:95], s[8:9], -v[166:167]
	v_add_f64_e32 v[34:35], v[44:45], v[34:35]
	v_fma_f64 v[44:45], v[67:68], s[8:9], v[164:165]
	s_delay_alu instid0(VALU_DEP_1) | instskip(SKIP_1) | instid1(VALU_DEP_1)
	v_add_f64_e32 v[36:37], v[44:45], v[36:37]
	v_fma_f64 v[44:45], v[106:107], s[6:7], -v[170:171]
	v_add_f64_e32 v[34:35], v[44:45], v[34:35]
	v_fma_f64 v[44:45], v[100:101], s[6:7], v[168:169]
	s_delay_alu instid0(VALU_DEP_1) | instskip(SKIP_1) | instid1(VALU_DEP_1)
	v_add_f64_e32 v[36:37], v[44:45], v[36:37]
	v_fma_f64 v[44:45], v[112:113], s[16:17], -v[172:173]
	v_add_f64_e32 v[34:35], v[44:45], v[34:35]
	v_fma_f64 v[44:45], v[118:119], s[16:17], v[174:175]
	s_delay_alu instid0(VALU_DEP_1) | instskip(NEXT) | instid1(VALU_DEP_3)
	v_add_f64_e32 v[36:37], v[44:45], v[36:37]
	v_mul_f64_e32 v[44:45], v[34:35], v[152:153]
	s_delay_alu instid0(VALU_DEP_2) | instskip(NEXT) | instid1(VALU_DEP_2)
	v_mul_f64_e32 v[51:52], v[36:37], v[152:153]
	v_fma_f64 v[36:37], v[36:37], v[38:39], -v[44:45]
	v_fma_f64 v[44:45], v[46:47], s[16:17], v[49:50]
	v_fma_f64 v[46:47], v[61:62], s[16:17], -v[63:64]
	v_fma_f64 v[49:50], v[94:95], s[28:29], -v[96:97]
	v_fma_f64 v[34:35], v[34:35], v[38:39], v[51:52]
	v_fma_f64 v[38:39], v[53:54], s[8:9], -v[55:56]
	v_add_f64_e32 v[40:41], v[44:45], v[40:41]
	v_fma_f64 v[44:45], v[100:101], s[10:11], v[102:103]
	s_delay_alu instid0(VALU_DEP_3) | instskip(NEXT) | instid1(VALU_DEP_3)
	v_add_f64_e32 v[38:39], v[70:71], v[38:39]
	v_add_f64_e32 v[40:41], v[42:43], v[40:41]
	v_fma_f64 v[42:43], v[118:119], s[6:7], v[154:155]
	s_delay_alu instid0(VALU_DEP_3) | instskip(SKIP_1) | instid1(VALU_DEP_4)
	v_add_f64_e32 v[38:39], v[46:47], v[38:39]
	v_fma_f64 v[46:47], v[106:107], s[10:11], -v[108:109]
	v_add_f64_e32 v[40:41], v[44:45], v[40:41]
	s_delay_alu instid0(VALU_DEP_3) | instskip(SKIP_1) | instid1(VALU_DEP_3)
	v_add_f64_e32 v[38:39], v[49:50], v[38:39]
	v_fma_f64 v[49:50], v[112:113], s[6:7], -v[114:115]
	v_add_f64_e32 v[40:41], v[42:43], v[40:41]
	s_delay_alu instid0(VALU_DEP_3) | instskip(NEXT) | instid1(VALU_DEP_2)
	v_add_f64_e32 v[38:39], v[46:47], v[38:39]
	v_mul_f64_e32 v[44:45], v[40:41], v[150:151]
	s_delay_alu instid0(VALU_DEP_2) | instskip(NEXT) | instid1(VALU_DEP_1)
	v_add_f64_e32 v[38:39], v[49:50], v[38:39]
	v_mul_f64_e32 v[42:43], v[38:39], v[150:151]
	s_delay_alu instid0(VALU_DEP_3) | instskip(SKIP_1) | instid1(VALU_DEP_3)
	v_fma_f64 v[38:39], v[38:39], v[84:85], v[44:45]
	v_add_f64_e32 v[44:45], v[72:73], v[122:123]
	v_fma_f64 v[40:41], v[40:41], v[84:85], -v[42:43]
	v_add_f64_e32 v[42:43], v[70:71], v[120:121]
	s_delay_alu instid0(VALU_DEP_3) | instskip(NEXT) | instid1(VALU_DEP_2)
	v_add_f64_e32 v[44:45], v[44:45], v[74:75]
	v_add_f64_e32 v[42:43], v[42:43], v[88:89]
	s_delay_alu instid0(VALU_DEP_2) | instskip(NEXT) | instid1(VALU_DEP_2)
	v_add_f64_e32 v[44:45], v[44:45], v[146:147]
	v_add_f64_e32 v[42:43], v[42:43], v[144:145]
	s_delay_alu instid0(VALU_DEP_2) | instskip(NEXT) | instid1(VALU_DEP_2)
	;; [unrolled: 3-line block ×9, first 2 shown]
	v_mul_f64_e32 v[49:50], v[44:45], v[82:83]
	v_mul_f64_e32 v[46:47], v[42:43], v[82:83]
	s_delay_alu instid0(VALU_DEP_2) | instskip(NEXT) | instid1(VALU_DEP_2)
	v_fma_f64 v[42:43], v[42:43], v[80:81], v[49:50]
	v_fma_f64 v[44:45], v[44:45], v[80:81], -v[46:47]
	v_mad_co_u64_u32 v[46:47], null, s14, v48, 0
	s_delay_alu instid0(VALU_DEP_1) | instskip(SKIP_1) | instid1(VALU_DEP_2)
	v_mad_co_u64_u32 v[47:48], null, s15, v48, v[47:48]
	v_mad_co_u64_u32 v[48:49], null, s12, v25, 0
	v_lshlrev_b64_e32 v[46:47], 4, v[46:47]
	s_delay_alu instid0(VALU_DEP_2) | instskip(NEXT) | instid1(VALU_DEP_1)
	v_mov_b32_e32 v0, v49
	v_mad_co_u64_u32 v[49:50], null, s13, v25, v[0:1]
	s_delay_alu instid0(VALU_DEP_3) | instskip(SKIP_1) | instid1(VALU_DEP_4)
	v_add_co_u32 v50, vcc_lo, s0, v46
	s_wait_alu 0xfffd
	v_add_co_ci_u32_e32 v51, vcc_lo, s1, v47, vcc_lo
	s_delay_alu instid0(VALU_DEP_3) | instskip(NEXT) | instid1(VALU_DEP_1)
	v_lshlrev_b64_e32 v[46:47], 4, v[48:49]
	v_add_co_u32 v46, vcc_lo, v50, v46
	s_wait_alu 0xfffd
	s_delay_alu instid0(VALU_DEP_2) | instskip(SKIP_2) | instid1(VALU_DEP_1)
	v_add_co_ci_u32_e32 v47, vcc_lo, v51, v47, vcc_lo
	global_store_b128 v[46:47], v[42:45], off
	v_add_nc_u32_e32 v44, 11, v25
	v_mad_co_u64_u32 v[42:43], null, s12, v44, 0
	s_delay_alu instid0(VALU_DEP_1) | instskip(NEXT) | instid1(VALU_DEP_1)
	v_mov_b32_e32 v0, v43
	v_mad_co_u64_u32 v[43:44], null, s13, v44, v[0:1]
	s_delay_alu instid0(VALU_DEP_1) | instskip(NEXT) | instid1(VALU_DEP_1)
	v_lshlrev_b64_e32 v[42:43], 4, v[42:43]
	v_add_co_u32 v42, vcc_lo, v50, v42
	s_wait_alu 0xfffd
	s_delay_alu instid0(VALU_DEP_2) | instskip(SKIP_2) | instid1(VALU_DEP_1)
	v_add_co_ci_u32_e32 v43, vcc_lo, v51, v43, vcc_lo
	global_store_b128 v[42:43], v[5:8], off
	v_add_nc_u32_e32 v7, 22, v25
	v_mad_co_u64_u32 v[5:6], null, s12, v7, 0
	s_delay_alu instid0(VALU_DEP_1) | instskip(NEXT) | instid1(VALU_DEP_1)
	v_mov_b32_e32 v0, v6
	v_mad_co_u64_u32 v[6:7], null, s13, v7, v[0:1]
	v_add_nc_u32_e32 v7, 33, v25
	s_delay_alu instid0(VALU_DEP_2) | instskip(NEXT) | instid1(VALU_DEP_1)
	v_lshlrev_b64_e32 v[5:6], 4, v[5:6]
	v_add_co_u32 v5, vcc_lo, v50, v5
	s_wait_alu 0xfffd
	s_delay_alu instid0(VALU_DEP_2) | instskip(SKIP_3) | instid1(VALU_DEP_2)
	v_add_co_ci_u32_e32 v6, vcc_lo, v51, v6, vcc_lo
	global_store_b128 v[5:6], v[9:12], off
	v_mad_co_u64_u32 v[5:6], null, s12, v7, 0
	v_add_nc_u32_e32 v9, 0x63, v25
	v_dual_mov_b32 v0, v6 :: v_dual_add_nc_u32 v11, 0x6e, v25
	s_delay_alu instid0(VALU_DEP_1) | instskip(SKIP_1) | instid1(VALU_DEP_2)
	v_mad_co_u64_u32 v[6:7], null, s13, v7, v[0:1]
	v_add_nc_u32_e32 v7, 44, v25
	v_lshlrev_b64_e32 v[5:6], 4, v[5:6]
	s_delay_alu instid0(VALU_DEP_1) | instskip(SKIP_1) | instid1(VALU_DEP_2)
	v_add_co_u32 v5, vcc_lo, v50, v5
	s_wait_alu 0xfffd
	v_add_co_ci_u32_e32 v6, vcc_lo, v51, v6, vcc_lo
	global_store_b128 v[5:6], v[13:16], off
	v_mad_co_u64_u32 v[5:6], null, s12, v7, 0
	s_delay_alu instid0(VALU_DEP_1) | instskip(NEXT) | instid1(VALU_DEP_1)
	v_mov_b32_e32 v0, v6
	v_mad_co_u64_u32 v[6:7], null, s13, v7, v[0:1]
	v_add_nc_u32_e32 v7, 55, v25
	s_delay_alu instid0(VALU_DEP_2) | instskip(NEXT) | instid1(VALU_DEP_1)
	v_lshlrev_b64_e32 v[5:6], 4, v[5:6]
	v_add_co_u32 v5, vcc_lo, v50, v5
	s_wait_alu 0xfffd
	s_delay_alu instid0(VALU_DEP_2) | instskip(SKIP_2) | instid1(VALU_DEP_1)
	v_add_co_ci_u32_e32 v6, vcc_lo, v51, v6, vcc_lo
	global_store_b128 v[5:6], v[17:20], off
	v_mad_co_u64_u32 v[5:6], null, s12, v7, 0
	v_mov_b32_e32 v0, v6
	s_delay_alu instid0(VALU_DEP_1) | instskip(SKIP_1) | instid1(VALU_DEP_2)
	v_mad_co_u64_u32 v[6:7], null, s13, v7, v[0:1]
	v_add_nc_u32_e32 v7, 0x42, v25
	v_lshlrev_b64_e32 v[5:6], 4, v[5:6]
	s_delay_alu instid0(VALU_DEP_1) | instskip(SKIP_1) | instid1(VALU_DEP_2)
	v_add_co_u32 v5, vcc_lo, v50, v5
	s_wait_alu 0xfffd
	v_add_co_ci_u32_e32 v6, vcc_lo, v51, v6, vcc_lo
	global_store_b128 v[5:6], v[21:24], off
	v_mad_co_u64_u32 v[5:6], null, s12, v7, 0
	s_delay_alu instid0(VALU_DEP_1) | instskip(NEXT) | instid1(VALU_DEP_1)
	v_mov_b32_e32 v0, v6
	v_mad_co_u64_u32 v[6:7], null, s13, v7, v[0:1]
	v_add_nc_u32_e32 v7, 0x4d, v25
	s_delay_alu instid0(VALU_DEP_2) | instskip(NEXT) | instid1(VALU_DEP_1)
	v_lshlrev_b64_e32 v[5:6], 4, v[5:6]
	v_add_co_u32 v5, vcc_lo, v50, v5
	s_wait_alu 0xfffd
	s_delay_alu instid0(VALU_DEP_2) | instskip(SKIP_2) | instid1(VALU_DEP_1)
	v_add_co_ci_u32_e32 v6, vcc_lo, v51, v6, vcc_lo
	global_store_b128 v[5:6], v[26:29], off
	v_mad_co_u64_u32 v[5:6], null, s12, v7, 0
	v_mov_b32_e32 v0, v6
	s_delay_alu instid0(VALU_DEP_1) | instskip(SKIP_1) | instid1(VALU_DEP_2)
	v_mad_co_u64_u32 v[6:7], null, s13, v7, v[0:1]
	v_add_nc_u32_e32 v7, 0x58, v25
	v_lshlrev_b64_e32 v[5:6], 4, v[5:6]
	s_delay_alu instid0(VALU_DEP_1) | instskip(SKIP_1) | instid1(VALU_DEP_2)
	v_add_co_u32 v5, vcc_lo, v50, v5
	s_wait_alu 0xfffd
	v_add_co_ci_u32_e32 v6, vcc_lo, v51, v6, vcc_lo
	global_store_b128 v[5:6], v[30:33], off
	v_mad_co_u64_u32 v[5:6], null, s12, v7, 0
	s_delay_alu instid0(VALU_DEP_1) | instskip(NEXT) | instid1(VALU_DEP_1)
	v_mov_b32_e32 v0, v6
	v_mad_co_u64_u32 v[6:7], null, s13, v7, v[0:1]
	v_mad_co_u64_u32 v[7:8], null, s12, v9, 0
	s_delay_alu instid0(VALU_DEP_2) | instskip(NEXT) | instid1(VALU_DEP_2)
	v_lshlrev_b64_e32 v[5:6], 4, v[5:6]
	v_mov_b32_e32 v0, v8
	s_delay_alu instid0(VALU_DEP_2) | instskip(NEXT) | instid1(VALU_DEP_2)
	v_add_co_u32 v5, vcc_lo, v50, v5
	v_mad_co_u64_u32 v[8:9], null, s13, v9, v[0:1]
	v_mad_co_u64_u32 v[9:10], null, s12, v11, 0
	s_wait_alu 0xfffd
	v_add_co_ci_u32_e32 v6, vcc_lo, v51, v6, vcc_lo
	s_delay_alu instid0(VALU_DEP_3) | instskip(NEXT) | instid1(VALU_DEP_3)
	v_lshlrev_b64_e32 v[7:8], 4, v[7:8]
	v_mov_b32_e32 v0, v10
	s_delay_alu instid0(VALU_DEP_2) | instskip(NEXT) | instid1(VALU_DEP_2)
	v_add_co_u32 v7, vcc_lo, v50, v7
	v_mad_co_u64_u32 v[10:11], null, s13, v11, v[0:1]
	s_wait_alu 0xfffd
	s_delay_alu instid0(VALU_DEP_4) | instskip(NEXT) | instid1(VALU_DEP_2)
	v_add_co_ci_u32_e32 v8, vcc_lo, v51, v8, vcc_lo
	v_lshlrev_b64_e32 v[9:10], 4, v[9:10]
	s_delay_alu instid0(VALU_DEP_1) | instskip(SKIP_1) | instid1(VALU_DEP_2)
	v_add_co_u32 v9, vcc_lo, v50, v9
	s_wait_alu 0xfffd
	v_add_co_ci_u32_e32 v10, vcc_lo, v51, v10, vcc_lo
	s_clause 0x2
	global_store_b128 v[5:6], v[34:37], off
	global_store_b128 v[7:8], v[38:41], off
	;; [unrolled: 1-line block ×3, first 2 shown]
.LBB0_18:
	s_nop 0
	s_sendmsg sendmsg(MSG_DEALLOC_VGPRS)
	s_endpgm
	.section	.rodata,"a",@progbits
	.p2align	6, 0x0
	.amdhsa_kernel fft_rtc_back_len121_factors_11_11_wgs_121_tpt_11_dp_ip_CI_sbcc_twdbase5_3step_dirReg
		.amdhsa_group_segment_fixed_size 0
		.amdhsa_private_segment_fixed_size 0
		.amdhsa_kernarg_size 96
		.amdhsa_user_sgpr_count 2
		.amdhsa_user_sgpr_dispatch_ptr 0
		.amdhsa_user_sgpr_queue_ptr 0
		.amdhsa_user_sgpr_kernarg_segment_ptr 1
		.amdhsa_user_sgpr_dispatch_id 0
		.amdhsa_user_sgpr_private_segment_size 0
		.amdhsa_wavefront_size32 1
		.amdhsa_uses_dynamic_stack 0
		.amdhsa_enable_private_segment 0
		.amdhsa_system_sgpr_workgroup_id_x 1
		.amdhsa_system_sgpr_workgroup_id_y 0
		.amdhsa_system_sgpr_workgroup_id_z 0
		.amdhsa_system_sgpr_workgroup_info 0
		.amdhsa_system_vgpr_workitem_id 0
		.amdhsa_next_free_vgpr 200
		.amdhsa_next_free_sgpr 49
		.amdhsa_reserve_vcc 1
		.amdhsa_float_round_mode_32 0
		.amdhsa_float_round_mode_16_64 0
		.amdhsa_float_denorm_mode_32 3
		.amdhsa_float_denorm_mode_16_64 3
		.amdhsa_fp16_overflow 0
		.amdhsa_workgroup_processor_mode 1
		.amdhsa_memory_ordered 1
		.amdhsa_forward_progress 0
		.amdhsa_round_robin_scheduling 0
		.amdhsa_exception_fp_ieee_invalid_op 0
		.amdhsa_exception_fp_denorm_src 0
		.amdhsa_exception_fp_ieee_div_zero 0
		.amdhsa_exception_fp_ieee_overflow 0
		.amdhsa_exception_fp_ieee_underflow 0
		.amdhsa_exception_fp_ieee_inexact 0
		.amdhsa_exception_int_div_zero 0
	.end_amdhsa_kernel
	.text
.Lfunc_end0:
	.size	fft_rtc_back_len121_factors_11_11_wgs_121_tpt_11_dp_ip_CI_sbcc_twdbase5_3step_dirReg, .Lfunc_end0-fft_rtc_back_len121_factors_11_11_wgs_121_tpt_11_dp_ip_CI_sbcc_twdbase5_3step_dirReg
                                        ; -- End function
	.section	.AMDGPU.csdata,"",@progbits
; Kernel info:
; codeLenInByte = 9828
; NumSgprs: 51
; NumVgprs: 200
; ScratchSize: 0
; MemoryBound: 1
; FloatMode: 240
; IeeeMode: 1
; LDSByteSize: 0 bytes/workgroup (compile time only)
; SGPRBlocks: 6
; VGPRBlocks: 24
; NumSGPRsForWavesPerEU: 51
; NumVGPRsForWavesPerEU: 200
; Occupancy: 7
; WaveLimiterHint : 1
; COMPUTE_PGM_RSRC2:SCRATCH_EN: 0
; COMPUTE_PGM_RSRC2:USER_SGPR: 2
; COMPUTE_PGM_RSRC2:TRAP_HANDLER: 0
; COMPUTE_PGM_RSRC2:TGID_X_EN: 1
; COMPUTE_PGM_RSRC2:TGID_Y_EN: 0
; COMPUTE_PGM_RSRC2:TGID_Z_EN: 0
; COMPUTE_PGM_RSRC2:TIDIG_COMP_CNT: 0
	.text
	.p2alignl 7, 3214868480
	.fill 96, 4, 3214868480
	.type	__hip_cuid_63e666b5426642d0,@object ; @__hip_cuid_63e666b5426642d0
	.section	.bss,"aw",@nobits
	.globl	__hip_cuid_63e666b5426642d0
__hip_cuid_63e666b5426642d0:
	.byte	0                               ; 0x0
	.size	__hip_cuid_63e666b5426642d0, 1

	.ident	"AMD clang version 19.0.0git (https://github.com/RadeonOpenCompute/llvm-project roc-6.4.0 25133 c7fe45cf4b819c5991fe208aaa96edf142730f1d)"
	.section	".note.GNU-stack","",@progbits
	.addrsig
	.addrsig_sym __hip_cuid_63e666b5426642d0
	.amdgpu_metadata
---
amdhsa.kernels:
  - .args:
      - .actual_access:  read_only
        .address_space:  global
        .offset:         0
        .size:           8
        .value_kind:     global_buffer
      - .address_space:  global
        .offset:         8
        .size:           8
        .value_kind:     global_buffer
      - .offset:         16
        .size:           8
        .value_kind:     by_value
      - .actual_access:  read_only
        .address_space:  global
        .offset:         24
        .size:           8
        .value_kind:     global_buffer
      - .actual_access:  read_only
        .address_space:  global
        .offset:         32
        .size:           8
        .value_kind:     global_buffer
      - .offset:         40
        .size:           8
        .value_kind:     by_value
      - .actual_access:  read_only
        .address_space:  global
        .offset:         48
        .size:           8
        .value_kind:     global_buffer
      - .actual_access:  read_only
        .address_space:  global
        .offset:         56
        .size:           8
        .value_kind:     global_buffer
      - .offset:         64
        .size:           4
        .value_kind:     by_value
      - .actual_access:  read_only
        .address_space:  global
        .offset:         72
        .size:           8
        .value_kind:     global_buffer
      - .actual_access:  read_only
        .address_space:  global
        .offset:         80
        .size:           8
        .value_kind:     global_buffer
      - .address_space:  global
        .offset:         88
        .size:           8
        .value_kind:     global_buffer
    .group_segment_fixed_size: 0
    .kernarg_segment_align: 8
    .kernarg_segment_size: 96
    .language:       OpenCL C
    .language_version:
      - 2
      - 0
    .max_flat_workgroup_size: 121
    .name:           fft_rtc_back_len121_factors_11_11_wgs_121_tpt_11_dp_ip_CI_sbcc_twdbase5_3step_dirReg
    .private_segment_fixed_size: 0
    .sgpr_count:     51
    .sgpr_spill_count: 0
    .symbol:         fft_rtc_back_len121_factors_11_11_wgs_121_tpt_11_dp_ip_CI_sbcc_twdbase5_3step_dirReg.kd
    .uniform_work_group_size: 1
    .uses_dynamic_stack: false
    .vgpr_count:     200
    .vgpr_spill_count: 0
    .wavefront_size: 32
    .workgroup_processor_mode: 1
amdhsa.target:   amdgcn-amd-amdhsa--gfx1201
amdhsa.version:
  - 1
  - 2
...

	.end_amdgpu_metadata
